;; amdgpu-corpus repo=ROCm/rocFFT kind=compiled arch=gfx906 opt=O3
	.text
	.amdgcn_target "amdgcn-amd-amdhsa--gfx906"
	.amdhsa_code_object_version 6
	.protected	bluestein_single_fwd_len1560_dim1_dp_op_CI_CI ; -- Begin function bluestein_single_fwd_len1560_dim1_dp_op_CI_CI
	.globl	bluestein_single_fwd_len1560_dim1_dp_op_CI_CI
	.p2align	8
	.type	bluestein_single_fwd_len1560_dim1_dp_op_CI_CI,@function
bluestein_single_fwd_len1560_dim1_dp_op_CI_CI: ; @bluestein_single_fwd_len1560_dim1_dp_op_CI_CI
; %bb.0:
	s_mov_b64 s[54:55], s[2:3]
	s_mov_b64 s[52:53], s[0:1]
	v_mul_u32_u24_e32 v1, 0x1a5, v0
	s_add_u32 s52, s52, s7
	v_add_u32_sdwa v3, s6, v1 dst_sel:DWORD dst_unused:UNUSED_PAD src0_sel:DWORD src1_sel:WORD_1
	s_addc_u32 s53, s53, 0
	v_mov_b32_e32 v2, v3
	buffer_store_dword v2, off, s[52:55], 0 ; 4-byte Folded Spill
	s_nop 0
	buffer_store_dword v3, off, s[52:55], 0 offset:4 ; 4-byte Folded Spill
	s_load_dwordx4 s[0:3], s[4:5], 0x28
	v_mov_b32_e32 v4, 0
	s_waitcnt lgkmcnt(0)
	v_cmp_gt_u64_e32 vcc, s[0:1], v[3:4]
	s_and_saveexec_b64 s[0:1], vcc
	s_cbranch_execz .LBB0_23
; %bb.1:
	s_load_dwordx2 s[14:15], s[4:5], 0x0
	s_load_dwordx2 s[12:13], s[4:5], 0x38
	s_movk_i32 s0, 0x9c
	v_mul_lo_u16_sdwa v1, v1, s0 dst_sel:DWORD dst_unused:UNUSED_PAD src0_sel:WORD_1 src1_sel:DWORD
	v_sub_u16_e32 v206, v0, v1
	s_movk_i32 s0, 0x78
	v_cmp_gt_u16_e64 s[0:1], s0, v206
	v_lshlrev_b32_e32 v255, 4, v206
	s_and_saveexec_b64 s[6:7], s[0:1]
	s_cbranch_execz .LBB0_3
; %bb.2:
	s_load_dwordx2 s[8:9], s[4:5], 0x18
	s_waitcnt lgkmcnt(0)
	s_load_dwordx4 s[8:11], s[8:9], 0x0
	buffer_load_dword v0, off, s[52:55], 0  ; 4-byte Folded Reload
	buffer_load_dword v1, off, s[52:55], 0 offset:4 ; 4-byte Folded Reload
	s_waitcnt lgkmcnt(0)
	v_mad_u64_u32 v[2:3], s[16:17], s8, v206, 0
	s_waitcnt vmcnt(1)
	v_mov_b32_e32 v4, v0
	s_waitcnt vmcnt(0)
	v_mad_u64_u32 v[0:1], s[16:17], s10, v4, 0
	v_mad_u64_u32 v[4:5], s[10:11], s11, v4, v[1:2]
	;; [unrolled: 1-line block ×3, first 2 shown]
	v_mov_b32_e32 v1, v4
	v_lshlrev_b64 v[0:1], 4, v[0:1]
	v_mov_b32_e32 v3, v5
	v_mov_b32_e32 v6, s3
	v_lshlrev_b64 v[2:3], 4, v[2:3]
	v_add_co_u32_e32 v0, vcc, s2, v0
	v_addc_co_u32_e32 v1, vcc, v6, v1, vcc
	v_add_co_u32_e32 v16, vcc, v0, v2
	v_addc_co_u32_e32 v17, vcc, v1, v3, vcc
	v_mov_b32_e32 v0, s15
	v_add_co_u32_e32 v94, vcc, s14, v255
	s_mul_i32 s2, s9, 0x780
	s_mul_hi_u32 s3, s8, 0x780
	v_addc_co_u32_e32 v95, vcc, 0, v0, vcc
	s_add_i32 s2, s3, s2
	s_mul_i32 s3, s8, 0x780
	v_mov_b32_e32 v0, s2
	v_add_co_u32_e32 v18, vcc, s3, v16
	v_addc_co_u32_e32 v19, vcc, v17, v0, vcc
	global_load_dwordx4 v[0:3], v[16:17], off
	global_load_dwordx4 v[4:7], v[18:19], off
	global_load_dwordx4 v[8:11], v255, s[14:15]
	global_load_dwordx4 v[12:15], v255, s[14:15] offset:1920
	v_mov_b32_e32 v16, s2
	v_add_co_u32_e32 v28, vcc, s3, v18
	v_addc_co_u32_e32 v29, vcc, v19, v16, vcc
	v_mov_b32_e32 v20, s2
	v_add_co_u32_e32 v30, vcc, s3, v28
	v_addc_co_u32_e32 v31, vcc, v29, v20, vcc
	s_movk_i32 s8, 0x1000
	v_add_co_u32_e32 v40, vcc, s8, v94
	v_addc_co_u32_e32 v41, vcc, 0, v95, vcc
	global_load_dwordx4 v[16:19], v255, s[14:15] offset:3840
	global_load_dwordx4 v[20:23], v[28:29], off
	global_load_dwordx4 v[24:27], v[30:31], off
	v_mov_b32_e32 v28, s2
	v_add_co_u32_e32 v42, vcc, s3, v30
	v_addc_co_u32_e32 v43, vcc, v31, v28, vcc
	global_load_dwordx4 v[28:31], v[42:43], off
	global_load_dwordx4 v[32:35], v[40:41], off offset:1664
	global_load_dwordx4 v[36:39], v[40:41], off offset:3584
	v_mov_b32_e32 v40, s2
	v_add_co_u32_e32 v44, vcc, s3, v42
	v_addc_co_u32_e32 v45, vcc, v43, v40, vcc
	s_movk_i32 s8, 0x2000
	v_add_co_u32_e32 v56, vcc, s8, v94
	v_addc_co_u32_e32 v57, vcc, 0, v95, vcc
	v_mov_b32_e32 v46, s2
	v_add_co_u32_e32 v58, vcc, s3, v44
	v_addc_co_u32_e32 v59, vcc, v45, v46, vcc
	global_load_dwordx4 v[40:43], v[44:45], off
	s_nop 0
	global_load_dwordx4 v[44:47], v[58:59], off
	global_load_dwordx4 v[48:51], v[56:57], off offset:1408
	global_load_dwordx4 v[52:55], v[56:57], off offset:3328
	v_mov_b32_e32 v56, s2
	v_add_co_u32_e32 v60, vcc, s3, v58
	v_addc_co_u32_e32 v61, vcc, v59, v56, vcc
	s_movk_i32 s8, 0x3000
	v_add_co_u32_e32 v72, vcc, s8, v94
	v_addc_co_u32_e32 v73, vcc, 0, v95, vcc
	v_mov_b32_e32 v62, s2
	v_add_co_u32_e32 v74, vcc, s3, v60
	v_addc_co_u32_e32 v75, vcc, v61, v62, vcc
	global_load_dwordx4 v[56:59], v[60:61], off
	s_nop 0
	;; [unrolled: 14-line block ×3, first 2 shown]
	global_load_dwordx4 v[76:79], v[90:91], off
	global_load_dwordx4 v[80:83], v[88:89], off offset:896
	global_load_dwordx4 v[84:87], v[88:89], off offset:2816
	v_mov_b32_e32 v88, s2
	v_add_co_u32_e32 v92, vcc, s3, v90
	v_addc_co_u32_e32 v93, vcc, v91, v88, vcc
	s_movk_i32 s8, 0x5000
	v_add_co_u32_e32 v104, vcc, s8, v94
	v_addc_co_u32_e32 v105, vcc, 0, v95, vcc
	global_load_dwordx4 v[88:91], v[92:93], off
	v_mov_b32_e32 v94, s2
	v_add_co_u32_e32 v106, vcc, s3, v92
	v_addc_co_u32_e32 v107, vcc, v93, v94, vcc
	global_load_dwordx4 v[92:95], v[104:105], off offset:640
	global_load_dwordx4 v[96:99], v[106:107], off
	global_load_dwordx4 v[100:103], v[104:105], off offset:2560
	s_waitcnt vmcnt(23)
	v_mul_f64 v[104:105], v[2:3], v[10:11]
	v_mul_f64 v[10:11], v[0:1], v[10:11]
	v_fma_f64 v[0:1], v[0:1], v[8:9], v[104:105]
	v_fma_f64 v[2:3], v[2:3], v[8:9], -v[10:11]
	s_waitcnt vmcnt(22)
	v_mul_f64 v[8:9], v[6:7], v[14:15]
	v_mul_f64 v[10:11], v[4:5], v[14:15]
	s_waitcnt vmcnt(20)
	v_mul_f64 v[14:15], v[22:23], v[18:19]
	v_mul_f64 v[18:19], v[20:21], v[18:19]
	;; [unrolled: 3-line block ×4, first 2 shown]
	v_fma_f64 v[4:5], v[4:5], v[12:13], v[8:9]
	v_fma_f64 v[6:7], v[6:7], v[12:13], -v[10:11]
	v_fma_f64 v[8:9], v[20:21], v[16:17], v[14:15]
	v_fma_f64 v[10:11], v[22:23], v[16:17], -v[18:19]
	;; [unrolled: 2-line block ×4, first 2 shown]
	ds_write_b128 v255, v[0:3]
	ds_write_b128 v255, v[4:7] offset:1920
	ds_write_b128 v255, v[8:11] offset:3840
	ds_write_b128 v255, v[12:15] offset:5760
	ds_write_b128 v255, v[16:19] offset:7680
	s_waitcnt vmcnt(13)
	v_mul_f64 v[0:1], v[42:43], v[50:51]
	v_mul_f64 v[2:3], v[40:41], v[50:51]
	s_waitcnt vmcnt(12)
	v_mul_f64 v[4:5], v[46:47], v[54:55]
	v_mul_f64 v[6:7], v[44:45], v[54:55]
	v_fma_f64 v[0:1], v[40:41], v[48:49], v[0:1]
	v_fma_f64 v[2:3], v[42:43], v[48:49], -v[2:3]
	v_fma_f64 v[4:5], v[44:45], v[52:53], v[4:5]
	v_fma_f64 v[6:7], v[46:47], v[52:53], -v[6:7]
	s_waitcnt vmcnt(9)
	v_mul_f64 v[8:9], v[58:59], v[66:67]
	v_mul_f64 v[10:11], v[56:57], v[66:67]
	s_waitcnt vmcnt(8)
	v_mul_f64 v[12:13], v[62:63], v[70:71]
	v_mul_f64 v[14:15], v[60:61], v[70:71]
	v_fma_f64 v[8:9], v[56:57], v[64:65], v[8:9]
	v_fma_f64 v[10:11], v[58:59], v[64:65], -v[10:11]
	v_fma_f64 v[12:13], v[60:61], v[68:69], v[12:13]
	v_fma_f64 v[14:15], v[62:63], v[68:69], -v[14:15]
	;; [unrolled: 10-line block ×4, first 2 shown]
	ds_write_b128 v255, v[0:3] offset:9600
	ds_write_b128 v255, v[4:7] offset:11520
	;; [unrolled: 1-line block ×8, first 2 shown]
.LBB0_3:
	s_or_b64 exec, exec, s[6:7]
	s_load_dwordx2 s[2:3], s[4:5], 0x20
	s_load_dwordx2 s[8:9], s[4:5], 0x8
	s_waitcnt vmcnt(0) lgkmcnt(0)
	s_barrier
	s_waitcnt lgkmcnt(0)
                                        ; implicit-def: $vgpr4_vgpr5
                                        ; implicit-def: $vgpr8_vgpr9
                                        ; implicit-def: $vgpr12_vgpr13
                                        ; implicit-def: $vgpr16_vgpr17
                                        ; implicit-def: $vgpr20_vgpr21
                                        ; implicit-def: $vgpr24_vgpr25
                                        ; implicit-def: $vgpr28_vgpr29
                                        ; implicit-def: $vgpr32_vgpr33
                                        ; implicit-def: $vgpr36_vgpr37
                                        ; implicit-def: $vgpr40_vgpr41
                                        ; implicit-def: $vgpr44_vgpr45
                                        ; implicit-def: $vgpr48_vgpr49
                                        ; implicit-def: $vgpr52_vgpr53
	s_and_saveexec_b64 s[4:5], s[0:1]
	s_cbranch_execz .LBB0_5
; %bb.4:
	ds_read_b128 v[4:7], v255
	ds_read_b128 v[8:11], v255 offset:1920
	ds_read_b128 v[12:15], v255 offset:3840
	;; [unrolled: 1-line block ×12, first 2 shown]
.LBB0_5:
	s_or_b64 exec, exec, s[4:5]
	s_waitcnt lgkmcnt(0)
	v_add_f64 v[86:87], v[10:11], -v[54:55]
	v_add_f64 v[78:79], v[8:9], -v[52:53]
	s_mov_b32 s10, 0x42a4c3d2
	s_mov_b32 s11, 0xbfea55e2
	v_add_f64 v[74:75], v[8:9], v[52:53]
	v_add_f64 v[94:95], v[10:11], v[54:55]
	v_add_f64 v[100:101], v[14:15], -v[50:51]
	v_add_f64 v[90:91], v[12:13], -v[48:49]
	v_mul_f64 v[88:89], v[86:87], s[10:11]
	v_mul_f64 v[148:149], v[78:79], s[10:11]
	s_mov_b32 s18, 0x4267c47c
	s_mov_b32 s4, 0x1ea71119
	;; [unrolled: 1-line block ×6, first 2 shown]
	v_mul_f64 v[56:57], v[86:87], s[18:19]
	v_mul_f64 v[58:59], v[78:79], s[18:19]
	v_add_f64 v[80:81], v[12:13], v[48:49]
	v_add_f64 v[122:123], v[14:15], v[50:51]
	v_add_f64 v[124:125], v[18:19], -v[46:47]
	v_fma_f64 v[96:97], v[74:75], s[4:5], v[88:89]
	v_mul_f64 v[92:93], v[100:101], s[26:27]
	v_fma_f64 v[106:107], v[94:95], s[4:5], -v[148:149]
	v_mul_f64 v[108:109], v[90:91], s[26:27]
	s_mov_b32 s6, 0xe00740e9
	s_mov_b32 s22, 0x66966769
	s_mov_b32 s24, 0xb2365da1
	s_mov_b32 s36, 0x4bc48dbf
	s_mov_b32 s7, 0x3fec55a7
	s_mov_b32 s23, 0xbfefc445
	s_mov_b32 s25, 0xbfd6b1d8
	s_mov_b32 s37, 0xbfcea1e5
	v_fma_f64 v[0:1], v[74:75], s[6:7], v[56:57]
	v_fma_f64 v[2:3], v[94:95], s[6:7], -v[58:59]
	v_mul_f64 v[60:61], v[100:101], s[10:11]
	v_mul_f64 v[62:63], v[90:91], s[10:11]
	v_add_f64 v[104:105], v[16:17], -v[44:45]
	v_add_f64 v[98:99], v[16:17], v[44:45]
	v_add_f64 v[136:137], v[22:23], -v[42:43]
	v_add_f64 v[112:113], v[4:5], v[96:97]
	v_fma_f64 v[114:115], v[80:81], s[24:25], v[92:93]
	v_add_f64 v[106:107], v[6:7], v[106:107]
	v_fma_f64 v[116:117], v[122:123], s[24:25], -v[108:109]
	v_mul_f64 v[96:97], v[124:125], s[36:37]
	v_mul_f64 v[142:143], v[86:87], s[22:23]
	;; [unrolled: 1-line block ×3, first 2 shown]
	s_mov_b32 s16, 0xebaa3ed8
	s_mov_b32 s30, 0x24c2f84
	;; [unrolled: 1-line block ×6, first 2 shown]
	v_add_f64 v[0:1], v[4:5], v[0:1]
	v_add_f64 v[2:3], v[6:7], v[2:3]
	v_fma_f64 v[68:69], v[80:81], s[4:5], v[60:61]
	v_fma_f64 v[70:71], v[122:123], s[4:5], -v[62:63]
	v_add_f64 v[132:133], v[18:19], v[46:47]
	v_mul_f64 v[64:65], v[124:125], s[22:23]
	v_mul_f64 v[66:67], v[104:105], s[22:23]
	v_add_f64 v[120:121], v[20:21], -v[40:41]
	v_add_f64 v[102:103], v[20:21], v[40:41]
	v_mul_f64 v[110:111], v[104:105], s[36:37]
	v_add_f64 v[112:113], v[114:115], v[112:113]
	v_add_f64 v[114:115], v[116:117], v[106:107]
	v_fma_f64 v[116:117], v[98:99], s[34:35], v[96:97]
	v_mul_f64 v[106:107], v[136:137], s[30:31]
	v_fma_f64 v[130:131], v[74:75], s[16:17], v[142:143]
	v_mul_f64 v[144:145], v[100:101], s[36:37]
	v_fma_f64 v[146:147], v[94:95], s[16:17], -v[199:200]
	v_mul_f64 v[201:202], v[90:91], s[36:37]
	s_mov_b32 s28, 0xd0032e0c
	s_mov_b32 s29, 0xbfe7f3cc
	;; [unrolled: 1-line block ×4, first 2 shown]
	v_add_f64 v[0:1], v[68:69], v[0:1]
	v_add_f64 v[2:3], v[70:71], v[2:3]
	v_fma_f64 v[72:73], v[98:99], s[16:17], v[64:65]
	v_mul_f64 v[68:69], v[136:137], s[26:27]
	v_fma_f64 v[76:77], v[132:133], s[16:17], -v[66:67]
	v_add_f64 v[134:135], v[22:23], v[42:43]
	v_mul_f64 v[70:71], v[120:121], s[26:27]
	v_add_f64 v[140:141], v[26:27], -v[38:39]
	v_add_f64 v[156:157], v[24:25], -v[36:37]
	v_fma_f64 v[126:127], v[132:133], s[34:35], -v[110:111]
	v_mul_f64 v[138:139], v[120:121], s[30:31]
	v_add_f64 v[112:113], v[116:117], v[112:113]
	v_fma_f64 v[116:117], v[102:103], s[28:29], v[106:107]
	v_add_f64 v[130:131], v[4:5], v[130:131]
	v_fma_f64 v[150:151], v[80:81], s[34:35], v[144:145]
	v_add_f64 v[152:153], v[6:7], v[146:147]
	v_fma_f64 v[154:155], v[122:123], s[34:35], -v[201:202]
	v_mul_f64 v[146:147], v[124:125], s[44:45]
	v_mul_f64 v[162:163], v[104:105], s[44:45]
	s_mov_b32 s39, 0xbfe5384d
	s_mov_b32 s38, s30
	;; [unrolled: 1-line block ×4, first 2 shown]
	v_add_f64 v[0:1], v[72:73], v[0:1]
	v_fma_f64 v[82:83], v[102:103], s[24:25], v[68:69]
	v_add_f64 v[128:129], v[24:25], v[36:37]
	v_mul_f64 v[72:73], v[140:141], s[38:39]
	v_add_f64 v[2:3], v[76:77], v[2:3]
	v_fma_f64 v[84:85], v[134:135], s[24:25], -v[70:71]
	v_add_f64 v[158:159], v[26:27], v[38:39]
	v_mul_f64 v[76:77], v[156:157], s[38:39]
	v_add_f64 v[114:115], v[126:127], v[114:115]
	v_fma_f64 v[126:127], v[134:135], s[28:29], -v[138:139]
	v_add_f64 v[112:113], v[116:117], v[112:113]
	v_add_f64 v[116:117], v[150:151], v[130:131]
	;; [unrolled: 1-line block ×3, first 2 shown]
	v_fma_f64 v[154:155], v[98:99], s[24:25], v[146:147]
	v_fma_f64 v[160:161], v[132:133], s[24:25], -v[162:163]
	v_mul_f64 v[150:151], v[136:137], s[40:41]
	v_mul_f64 v[166:167], v[120:121], s[40:41]
	s_mov_b32 s43, 0x3fefc445
	s_mov_b32 s42, s22
	v_add_f64 v[0:1], v[82:83], v[0:1]
	v_fma_f64 v[82:83], v[128:129], s[28:29], v[72:73]
	v_add_f64 v[2:3], v[84:85], v[2:3]
	v_fma_f64 v[84:85], v[158:159], s[28:29], -v[76:77]
	v_add_f64 v[187:188], v[30:31], -v[34:35]
	v_add_f64 v[191:192], v[28:29], -v[32:33]
	v_add_f64 v[114:115], v[126:127], v[114:115]
	v_mul_f64 v[126:127], v[140:141], s[42:43]
	v_mul_f64 v[152:153], v[156:157], s[42:43]
	v_add_f64 v[116:117], v[154:155], v[116:117]
	v_add_f64 v[164:165], v[160:161], v[130:131]
	v_fma_f64 v[170:171], v[102:103], s[6:7], v[150:151]
	v_fma_f64 v[177:178], v[134:135], s[6:7], -v[166:167]
	v_mul_f64 v[154:155], v[140:141], s[10:11]
	v_mul_f64 v[168:169], v[156:157], s[10:11]
	v_add_f64 v[0:1], v[82:83], v[0:1]
	v_add_f64 v[2:3], v[84:85], v[2:3]
	;; [unrolled: 1-line block ×3, first 2 shown]
	v_mul_f64 v[82:83], v[187:188], s[36:37]
	v_add_f64 v[189:190], v[30:31], v[34:35]
	v_mul_f64 v[84:85], v[191:192], s[36:37]
	v_fma_f64 v[179:180], v[128:129], s[16:17], v[126:127]
	v_fma_f64 v[181:182], v[158:159], s[16:17], -v[152:153]
	v_mul_f64 v[130:131], v[187:188], s[40:41]
	v_mul_f64 v[160:161], v[191:192], s[40:41]
	v_add_f64 v[116:117], v[170:171], v[116:117]
	v_add_f64 v[177:178], v[177:178], v[164:165]
	v_fma_f64 v[183:184], v[128:129], s[4:5], v[154:155]
	v_fma_f64 v[185:186], v[158:159], s[4:5], -v[168:169]
	v_mul_f64 v[164:165], v[187:188], s[38:39]
	v_mul_f64 v[170:171], v[191:192], s[38:39]
	v_fma_f64 v[118:119], v[173:174], s[34:35], v[82:83]
	v_fma_f64 v[175:176], v[189:190], s[34:35], -v[84:85]
	v_add_f64 v[112:113], v[179:180], v[112:113]
	v_add_f64 v[114:115], v[181:182], v[114:115]
	v_fma_f64 v[179:180], v[173:174], s[6:7], v[130:131]
	v_fma_f64 v[181:182], v[189:190], s[6:7], -v[160:161]
	v_add_f64 v[116:117], v[183:184], v[116:117]
	v_add_f64 v[177:178], v[185:186], v[177:178]
	;; [unrolled: 4-line block ×3, first 2 shown]
	v_add_f64 v[112:113], v[179:180], v[112:113]
	v_add_f64 v[114:115], v[181:182], v[114:115]
	v_mul_lo_u16_e32 v0, 13, v206
	v_add_f64 v[116:117], v[183:184], v[116:117]
	v_add_f64 v[118:119], v[185:186], v[177:178]
	s_barrier
	buffer_store_dword v0, off, s[52:55], 0 offset:8 ; 4-byte Folded Spill
	s_and_saveexec_b64 s[20:21], s[0:1]
	s_cbranch_execz .LBB0_7
; %bb.6:
	v_mul_f64 v[203:204], v[94:95], s[34:35]
	s_mov_b32 s47, 0x3fcea1e5
	s_mov_b32 s46, s36
	v_mov_b32_e32 v172, v206
	v_mul_f64 v[205:206], v[122:123], s[6:7]
	v_mul_f64 v[211:212], v[86:87], s[36:37]
	;; [unrolled: 1-line block ×4, first 2 shown]
	v_fma_f64 v[207:208], v[78:79], s[46:47], v[203:204]
	v_mul_f64 v[215:216], v[134:135], s[4:5]
	v_mul_f64 v[243:244], v[124:125], s[38:39]
	v_fma_f64 v[203:204], v[78:79], s[36:37], v[203:204]
	v_fma_f64 v[229:230], v[90:91], s[18:19], v[205:206]
	v_fma_f64 v[235:236], v[74:75], s[34:35], v[211:212]
	v_fma_f64 v[241:242], v[104:105], s[30:31], v[217:218]
	v_fma_f64 v[211:212], v[74:75], s[34:35], -v[211:212]
	v_add_f64 v[207:208], v[6:7], v[207:208]
	s_mov_b32 s49, 0x3fea55e2
	s_mov_b32 s48, s10
	v_mul_f64 v[213:214], v[158:159], s[24:25]
	v_fma_f64 v[239:240], v[120:121], s[10:11], v[215:216]
	v_add_f64 v[235:236], v[4:5], v[235:236]
	v_mul_f64 v[245:246], v[136:137], s[48:49]
	v_fma_f64 v[247:248], v[98:99], s[28:29], v[243:244]
	v_add_f64 v[207:208], v[229:230], v[207:208]
	v_fma_f64 v[229:230], v[80:81], s[6:7], v[231:232]
	v_fma_f64 v[205:206], v[90:91], s[40:41], v[205:206]
	v_add_f64 v[203:204], v[6:7], v[203:204]
	v_fma_f64 v[231:232], v[80:81], s[6:7], -v[231:232]
	v_add_f64 v[211:212], v[4:5], v[211:212]
	v_mul_f64 v[209:210], v[189:190], s[16:17]
	v_fma_f64 v[237:238], v[156:157], s[44:45], v[213:214]
	v_add_f64 v[207:208], v[241:242], v[207:208]
	v_add_f64 v[229:230], v[229:230], v[235:236]
	v_mul_f64 v[235:236], v[140:141], s[26:27]
	v_fma_f64 v[241:242], v[102:103], s[4:5], v[245:246]
	v_fma_f64 v[217:218], v[104:105], s[38:39], v[217:218]
	v_add_f64 v[203:204], v[205:206], v[203:204]
	v_fma_f64 v[243:244], v[98:99], s[28:29], -v[243:244]
	v_add_f64 v[211:212], v[231:232], v[211:212]
	v_add_f64 v[207:208], v[239:240], v[207:208]
	v_add_f64 v[205:206], v[247:248], v[229:230]
	v_fma_f64 v[233:234], v[191:192], s[22:23], v[209:210]
	v_mul_f64 v[229:230], v[187:188], s[42:43]
	v_fma_f64 v[239:240], v[128:129], s[24:25], v[235:236]
	v_fma_f64 v[215:216], v[120:121], s[48:49], v[215:216]
	v_add_f64 v[203:204], v[217:218], v[203:204]
	v_add_f64 v[211:212], v[243:244], v[211:212]
	;; [unrolled: 1-line block ×4, first 2 shown]
	v_fma_f64 v[237:238], v[102:103], s[4:5], -v[245:246]
	v_fma_f64 v[217:218], v[173:174], s[16:17], v[229:230]
	v_fma_f64 v[213:214], v[156:157], s[26:27], v[213:214]
	v_fma_f64 v[229:230], v[173:174], s[16:17], -v[229:230]
	v_add_f64 v[203:204], v[215:216], v[203:204]
	v_mul_f64 v[243:244], v[124:125], s[10:11]
	v_mul_f64 v[183:184], v[94:95], s[6:7]
	v_add_f64 v[215:216], v[239:240], v[205:206]
	v_add_f64 v[205:206], v[233:234], v[207:208]
	v_mul_f64 v[233:234], v[94:95], s[28:29]
	v_fma_f64 v[207:208], v[191:192], s[42:43], v[209:210]
	v_fma_f64 v[209:210], v[128:129], s[24:25], -v[235:236]
	v_mul_f64 v[235:236], v[86:87], s[38:39]
	v_add_f64 v[211:212], v[237:238], v[211:212]
	v_add_f64 v[213:214], v[213:214], v[203:204]
	;; [unrolled: 1-line block ×3, first 2 shown]
	v_mul_f64 v[215:216], v[122:123], s[16:17]
	v_fma_f64 v[217:218], v[78:79], s[30:31], v[233:234]
	v_mul_f64 v[237:238], v[100:101], s[42:43]
	v_fma_f64 v[247:248], v[98:99], s[4:5], v[243:244]
	v_fma_f64 v[239:240], v[74:75], s[28:29], v[235:236]
	v_add_f64 v[211:212], v[209:210], v[211:212]
	v_add_f64 v[209:210], v[207:208], v[213:214]
	v_mul_f64 v[213:214], v[132:133], s[4:5]
	v_fma_f64 v[241:242], v[90:91], s[22:23], v[215:216]
	v_add_f64 v[217:218], v[6:7], v[217:218]
	v_fma_f64 v[245:246], v[80:81], s[16:17], v[237:238]
	v_fma_f64 v[215:216], v[90:91], s[42:43], v[215:216]
	v_add_f64 v[239:240], v[4:5], v[239:240]
	v_add_f64 v[207:208], v[229:230], v[211:212]
	v_fma_f64 v[229:230], v[78:79], s[38:39], v[233:234]
	v_mul_f64 v[211:212], v[134:135], s[34:35]
	v_fma_f64 v[233:234], v[104:105], s[48:49], v[213:214]
	v_add_f64 v[217:218], v[241:242], v[217:218]
	v_mul_f64 v[241:242], v[158:159], s[6:7]
	v_fma_f64 v[235:236], v[74:75], s[28:29], -v[235:236]
	v_add_f64 v[239:240], v[245:246], v[239:240]
	v_mul_f64 v[245:246], v[136:137], s[46:47]
	v_add_f64 v[229:230], v[6:7], v[229:230]
	v_fma_f64 v[249:250], v[120:121], s[36:37], v[211:212]
	v_fma_f64 v[213:214], v[104:105], s[10:11], v[213:214]
	v_add_f64 v[217:218], v[233:234], v[217:218]
	v_mul_f64 v[233:234], v[140:141], s[40:41]
	v_fma_f64 v[237:238], v[80:81], s[16:17], -v[237:238]
	v_add_f64 v[239:240], v[247:248], v[239:240]
	v_fma_f64 v[247:248], v[102:103], s[34:35], v[245:246]
	v_add_f64 v[215:216], v[215:216], v[229:230]
	v_mul_f64 v[229:230], v[189:190], s[24:25]
	v_add_f64 v[235:236], v[4:5], v[235:236]
	v_add_f64 v[217:218], v[249:250], v[217:218]
	v_fma_f64 v[249:250], v[156:157], s[18:19], v[241:242]
	v_mul_f64 v[219:220], v[94:95], s[4:5]
	v_mul_f64 v[221:222], v[94:95], s[16:17]
	v_add_f64 v[239:240], v[247:248], v[239:240]
	v_fma_f64 v[247:248], v[128:129], s[6:7], v[233:234]
	v_add_f64 v[213:214], v[213:214], v[215:216]
	v_mul_f64 v[215:216], v[187:188], s[26:27]
	v_fma_f64 v[211:212], v[120:121], s[46:47], v[211:212]
	v_fma_f64 v[243:244], v[98:99], s[4:5], -v[243:244]
	v_add_f64 v[235:236], v[237:238], v[235:236]
	v_add_f64 v[217:218], v[249:250], v[217:218]
	v_fma_f64 v[249:250], v[191:192], s[44:45], v[229:230]
	v_add_f64 v[239:240], v[247:248], v[239:240]
	v_mul_f64 v[94:95], v[94:95], s[24:25]
	v_fma_f64 v[247:248], v[173:174], s[24:25], v[215:216]
	v_mov_b32_e32 v175, v224
	v_mul_f64 v[181:182], v[122:123], s[4:5]
	v_mov_b32_e32 v176, v225
	v_mov_b32_e32 v177, v226
	;; [unrolled: 1-line block ×3, first 2 shown]
	v_mul_f64 v[223:224], v[122:123], s[24:25]
	v_mul_f64 v[227:228], v[122:123], s[34:35]
	v_add_f64 v[251:252], v[211:212], v[213:214]
	v_add_f64 v[235:236], v[243:244], v[235:236]
	v_add_f64 v[213:214], v[249:250], v[217:218]
	v_fma_f64 v[217:218], v[102:103], s[34:35], -v[245:246]
	v_fma_f64 v[241:242], v[156:157], s[40:41], v[241:242]
	v_add_f64 v[211:212], v[247:248], v[239:240]
	v_mul_f64 v[122:123], v[122:123], s[28:29]
	v_mul_f64 v[86:87], v[86:87], s[26:27]
	v_fma_f64 v[239:240], v[78:79], s[44:45], v[94:95]
	v_fma_f64 v[78:79], v[78:79], s[26:27], v[94:95]
	v_mul_f64 v[197:198], v[132:133], s[16:17]
	v_mul_f64 v[237:238], v[132:133], s[34:35]
	;; [unrolled: 1-line block ×3, first 2 shown]
	v_fma_f64 v[229:230], v[191:192], s[26:27], v[229:230]
	v_fma_f64 v[233:234], v[128:129], s[6:7], -v[233:234]
	v_add_f64 v[217:218], v[217:218], v[235:236]
	v_add_f64 v[235:236], v[241:242], v[251:252]
	v_fma_f64 v[241:242], v[90:91], s[38:39], v[122:123]
	v_mul_f64 v[100:101], v[100:101], s[30:31]
	v_fma_f64 v[245:246], v[74:75], s[24:25], v[86:87]
	v_add_f64 v[239:240], v[6:7], v[239:240]
	v_mul_f64 v[132:133], v[132:133], s[6:7]
	v_fma_f64 v[90:91], v[90:91], s[30:31], v[122:123]
	v_add_f64 v[78:79], v[6:7], v[78:79]
	v_mul_f64 v[2:3], v[74:75], s[6:7]
	v_mul_f64 v[0:1], v[74:75], s[4:5]
	;; [unrolled: 1-line block ×3, first 2 shown]
	v_add_f64 v[233:234], v[233:234], v[217:218]
	v_add_f64 v[217:218], v[229:230], v[235:236]
	v_mul_f64 v[229:230], v[134:135], s[16:17]
	v_mul_f64 v[124:125], v[124:125], s[40:41]
	v_fma_f64 v[235:236], v[80:81], s[28:29], v[100:101]
	v_add_f64 v[245:246], v[4:5], v[245:246]
	v_add_f64 v[239:240], v[241:242], v[239:240]
	v_fma_f64 v[241:242], v[104:105], s[18:19], v[132:133]
	v_fma_f64 v[104:105], v[104:105], s[40:41], v[132:133]
	v_add_f64 v[78:79], v[90:91], v[78:79]
	v_fma_f64 v[74:75], v[74:75], s[24:25], -v[86:87]
	v_add_f64 v[8:9], v[4:5], v[8:9]
	v_mul_f64 v[179:180], v[80:81], s[4:5]
	v_mul_f64 v[185:186], v[80:81], s[24:25]
	;; [unrolled: 1-line block ×3, first 2 shown]
	v_fma_f64 v[247:248], v[120:121], s[42:43], v[229:230]
	v_fma_f64 v[94:95], v[98:99], s[6:7], v[124:125]
	v_add_f64 v[235:236], v[235:236], v[245:246]
	v_mul_f64 v[136:137], v[136:137], s[22:23]
	v_mul_f64 v[90:91], v[158:159], s[34:35]
	v_fma_f64 v[120:121], v[120:121], s[22:23], v[229:230]
	v_add_f64 v[78:79], v[104:105], v[78:79]
	v_fma_f64 v[80:81], v[80:81], s[28:29], -v[100:101]
	v_add_f64 v[74:75], v[4:5], v[74:75]
	v_add_f64 v[8:9], v[8:9], v[12:13]
	v_mul_f64 v[193:194], v[98:99], s[16:17]
	v_mul_f64 v[231:232], v[98:99], s[34:35]
	;; [unrolled: 1-line block ×3, first 2 shown]
	v_fma_f64 v[215:216], v[173:174], s[24:25], -v[215:216]
	v_add_f64 v[239:240], v[241:242], v[239:240]
	v_add_f64 v[94:95], v[94:95], v[235:236]
	v_fma_f64 v[235:236], v[102:103], s[16:17], v[136:137]
	v_fma_f64 v[104:105], v[156:157], s[36:37], v[90:91]
	;; [unrolled: 1-line block ×3, first 2 shown]
	v_mul_f64 v[100:101], v[189:190], s[4:5]
	v_add_f64 v[78:79], v[120:121], v[78:79]
	v_mul_f64 v[140:141], v[140:141], s[46:47]
	v_fma_f64 v[98:99], v[98:99], s[6:7], -v[124:125]
	v_add_f64 v[74:75], v[80:81], v[74:75]
	v_add_f64 v[8:9], v[8:9], v[16:17]
	;; [unrolled: 1-line block ×3, first 2 shown]
	v_mul_f64 v[233:234], v[102:103], s[24:25]
	v_mul_f64 v[245:246], v[102:103], s[28:29]
	v_add_f64 v[239:240], v[247:248], v[239:240]
	v_mul_f64 v[247:248], v[102:103], s[6:7]
	v_add_f64 v[94:95], v[235:236], v[94:95]
	v_fma_f64 v[80:81], v[191:192], s[10:11], v[100:101]
	v_fma_f64 v[100:101], v[191:192], s[48:49], v[100:101]
	v_add_f64 v[78:79], v[90:91], v[78:79]
	v_fma_f64 v[90:91], v[128:129], s[34:35], v[140:141]
	v_fma_f64 v[102:103], v[102:103], s[16:17], -v[136:137]
	v_add_f64 v[74:75], v[98:99], v[74:75]
	v_add_f64 v[199:200], v[199:200], v[221:222]
	;; [unrolled: 1-line block ×4, first 2 shown]
	v_mul_f64 v[241:242], v[134:135], s[24:25]
	v_mul_f64 v[122:123], v[134:135], s[28:29]
	v_add_f64 v[90:91], v[90:91], v[94:95]
	v_fma_f64 v[94:95], v[128:129], s[34:35], -v[140:141]
	v_add_f64 v[102:103], v[102:103], v[74:75]
	v_add_f64 v[74:75], v[100:101], v[78:79]
	;; [unrolled: 1-line block ×7, first 2 shown]
	v_mul_f64 v[134:135], v[134:135], s[6:7]
	v_add_f64 v[94:95], v[94:95], v[102:103]
	v_add_f64 v[102:103], v[162:163], v[243:244]
	v_add_f64 v[142:143], v[195:196], -v[142:143]
	v_add_f64 v[78:79], v[78:79], v[100:101]
	v_add_f64 v[100:101], v[108:109], v[223:224]
	;; [unrolled: 1-line block ×4, first 2 shown]
	v_add_f64 v[28:29], v[0:1], -v[88:89]
	buffer_load_dword v0, off, s[52:55], 0 offset:8 ; 4-byte Folded Reload
	v_add_f64 v[10:11], v[10:11], v[18:19]
	v_mul_f64 v[235:236], v[158:159], s[28:29]
	v_mul_f64 v[229:230], v[158:159], s[16:17]
	v_mul_f64 v[158:159], v[158:159], s[4:5]
	v_add_f64 v[12:13], v[166:167], v[134:135]
	v_add_f64 v[14:15], v[225:226], -v[144:145]
	v_add_f64 v[134:135], v[4:5], v[142:143]
	v_add_f64 v[78:79], v[102:103], v[78:79]
	v_add_f64 v[102:103], v[110:111], v[237:238]
	v_add_f64 v[100:101], v[100:101], v[108:109]
	v_add_f64 v[10:11], v[10:11], v[22:23]
	v_add_f64 v[16:17], v[168:169], v[158:159]
	v_add_f64 v[18:19], v[253:254], -v[146:147]
	v_add_f64 v[58:59], v[58:59], v[183:184]
	v_add_f64 v[14:15], v[14:15], v[134:135]
	;; [unrolled: 1-line block ×14, first 2 shown]
	v_add_f64 v[58:59], v[179:180], -v[60:61]
	v_add_f64 v[30:31], v[185:186], -v[92:93]
	v_add_f64 v[8:9], v[8:9], v[36:37]
	v_mul_f64 v[132:133], v[128:129], s[28:29]
	v_add_f64 v[36:37], v[70:71], v[241:242]
	v_mul_f64 v[86:87], v[128:129], s[16:17]
	v_add_f64 v[16:17], v[16:17], v[18:19]
	v_add_f64 v[18:19], v[2:3], -v[56:57]
	v_add_f64 v[10:11], v[10:11], v[34:35]
	v_add_f64 v[56:57], v[62:63], v[181:182]
	v_add_f64 v[34:35], v[193:194], -v[64:65]
	v_add_f64 v[8:9], v[8:9], v[40:41]
	v_mul_f64 v[156:157], v[128:129], s[4:5]
	v_add_f64 v[22:23], v[247:248], -v[150:151]
	v_mul_f64 v[136:137], v[189:190], s[6:7]
	v_add_f64 v[18:19], v[4:5], v[18:19]
	v_add_f64 v[4:5], v[4:5], v[28:29]
	;; [unrolled: 1-line block ×4, first 2 shown]
	v_add_f64 v[28:29], v[231:232], -v[96:97]
	v_add_f64 v[8:9], v[8:9], v[44:45]
	v_mul_f64 v[120:121], v[173:174], s[34:35]
	v_mul_f64 v[124:125], v[189:190], s[34:35]
	v_add_f64 v[18:19], v[58:59], v[18:19]
	v_add_f64 v[4:5], v[30:31], v[4:5]
	;; [unrolled: 1-line block ×4, first 2 shown]
	v_add_f64 v[32:33], v[233:234], -v[68:69]
	v_add_f64 v[30:31], v[245:246], -v[106:107]
	v_mul_f64 v[189:190], v[189:190], s[28:29]
	v_mul_f64 v[191:192], v[173:174], s[6:7]
	v_add_f64 v[18:19], v[34:35], v[18:19]
	v_add_f64 v[4:5], v[28:29], v[4:5]
	;; [unrolled: 1-line block ×5, first 2 shown]
	v_add_f64 v[36:37], v[132:133], -v[72:73]
	v_mul_f64 v[187:188], v[187:188], s[48:49]
	v_add_f64 v[28:29], v[86:87], -v[126:127]
	v_add_f64 v[18:19], v[32:33], v[18:19]
	v_add_f64 v[4:5], v[30:31], v[4:5]
	v_mul_f64 v[98:99], v[173:174], s[28:29]
	v_add_f64 v[26:27], v[156:157], -v[154:155]
	v_add_f64 v[14:15], v[22:23], v[14:15]
	v_add_f64 v[22:23], v[160:161], v[136:137]
	v_add_f64 v[40:41], v[10:11], v[50:51]
	v_add_f64 v[8:9], v[8:9], v[48:49]
	v_add_f64 v[20:21], v[170:171], v[189:190]
	v_add_f64 v[32:33], v[84:85], v[124:125]
	v_add_f64 v[34:35], v[34:35], v[6:7]
	v_add_f64 v[38:39], v[120:121], -v[82:83]
	v_add_f64 v[36:37], v[36:37], v[18:19]
	v_add_f64 v[104:105], v[104:105], v[239:240]
	v_fma_f64 v[221:222], v[173:174], s[4:5], v[187:188]
	v_add_f64 v[30:31], v[191:192], -v[130:131]
	v_add_f64 v[4:5], v[28:29], v[4:5]
	v_add_f64 v[24:25], v[98:99], -v[164:165]
	v_add_f64 v[26:27], v[26:27], v[14:15]
	v_fma_f64 v[128:129], v[173:174], s[4:5], -v[187:188]
	v_add_f64 v[10:11], v[22:23], v[16:17]
	v_add_f64 v[18:19], v[40:41], v[54:55]
	;; [unrolled: 1-line block ×11, first 2 shown]
	v_mov_b32_e32 v227, v178
	s_waitcnt vmcnt(0)
	v_lshlrev_b32_e32 v0, 4, v0
	v_mov_b32_e32 v226, v177
	v_mov_b32_e32 v225, v176
	;; [unrolled: 1-line block ×3, first 2 shown]
	ds_write_b128 v0, v[16:19]
	ds_write_b128 v0, v[12:15] offset:16
	ds_write_b128 v0, v[8:11] offset:32
	;; [unrolled: 1-line block ×7, first 2 shown]
	v_mov_b32_e32 v206, v172
	ds_write_b128 v0, v[211:214] offset:128
	ds_write_b128 v0, v[20:23] offset:144
	;; [unrolled: 1-line block ×5, first 2 shown]
.LBB0_7:
	s_or_b64 exec, exec, s[20:21]
	s_load_dwordx4 s[4:7], s[2:3], 0x0
	s_movk_i32 s2, 0x9c
	v_add_co_u32_e32 v78, vcc, s2, v206
	v_addc_co_u32_e64 v79, s[2:3], 0, 0, vcc
	s_movk_i32 s2, 0x138
	v_add_co_u32_e32 v76, vcc, s2, v206
	v_addc_co_u32_e64 v77, s[2:3], 0, 0, vcc
	;; [unrolled: 3-line block ×3, first 2 shown]
	s_movk_i32 s2, 0x270
	v_add_co_u32_e32 v0, vcc, s2, v206
	s_movk_i32 s2, 0x4f
	v_mul_lo_u16_sdwa v44, v206, s2 dst_sel:DWORD dst_unused:UNUSED_PAD src0_sel:BYTE_0 src1_sel:DWORD
	v_lshrrev_b16_e32 v1, 10, v44
	s_movk_i32 s2, 0x4ec5
	v_mul_lo_u16_e32 v2, 13, v1
	v_mul_u32_u24_sdwa v4, v78, s2 dst_sel:DWORD dst_unused:UNUSED_PAD src0_sel:WORD_0 src1_sel:DWORD
	v_sub_u16_e32 v2, v206, v2
	v_lshrrev_b32_e32 v5, 18, v4
	v_and_b32_e32 v2, 0xff, v2
	v_mul_lo_u16_e32 v6, 13, v5
	v_lshlrev_b32_e32 v3, 4, v2
	v_sub_u16_e32 v6, v78, v6
	s_waitcnt vmcnt(0) lgkmcnt(0)
	s_barrier
	v_lshlrev_b32_e32 v7, 4, v6
	global_load_dwordx4 v[20:23], v3, s[8:9]
	global_load_dwordx4 v[16:19], v7, s[8:9]
	v_mul_u32_u24_sdwa v3, v76, s2 dst_sel:DWORD dst_unused:UNUSED_PAD src0_sel:WORD_0 src1_sel:DWORD
	v_lshrrev_b32_e32 v7, 18, v3
	v_mul_u32_u24_sdwa v10, v80, s2 dst_sel:DWORD dst_unused:UNUSED_PAD src0_sel:WORD_0 src1_sel:DWORD
	v_mul_lo_u16_e32 v8, 13, v7
	v_lshrrev_b32_e32 v11, 18, v10
	v_sub_u16_e32 v8, v76, v8
	v_mul_lo_u16_e32 v12, 13, v11
	v_lshlrev_b32_e32 v9, 4, v8
	v_sub_u16_e32 v12, v80, v12
	v_lshlrev_b32_e32 v13, 4, v12
	global_load_dwordx4 v[245:248], v9, s[8:9]
	global_load_dwordx4 v[239:242], v13, s[8:9]
	v_mul_u32_u24_sdwa v9, v0, s2 dst_sel:DWORD dst_unused:UNUSED_PAD src0_sel:WORD_0 src1_sel:DWORD
	v_lshrrev_b32_e32 v13, 18, v9
	v_mul_lo_u16_e32 v14, 13, v13
	v_sub_u16_e32 v14, v0, v14
	v_lshlrev_b32_e32 v15, 4, v14
	global_load_dwordx4 v[251:254], v15, s[8:9]
	v_mov_b32_e32 v15, 4
	v_lshlrev_b32_sdwa v172, v15, v206 dst_sel:DWORD dst_unused:UNUSED_PAD src0_sel:DWORD src1_sel:WORD_0
	ds_read_b128 v[24:27], v172
	ds_read_b128 v[28:31], v172 offset:2496
	ds_read_b128 v[32:35], v172 offset:14976
	;; [unrolled: 1-line block ×9, first 2 shown]
	v_mul_u32_u24_e32 v1, 26, v1
	v_add_lshl_u32 v199, v1, v2, 4
	v_mad_legacy_u16 v1, v5, 26, v6
	v_mad_legacy_u16 v2, v7, 26, v8
	v_lshlrev_b32_e32 v1, 4, v1
	s_waitcnt vmcnt(0) lgkmcnt(0)
	s_barrier
	v_lshlrev_b32_e32 v200, 4, v2
	v_lshrrev_b32_e32 v4, 19, v4
	v_mul_lo_u16_e32 v6, 26, v4
	v_sub_u16_e32 v6, v78, v6
	v_lshrrev_b32_e32 v3, 19, v3
	v_lshlrev_b32_e32 v7, 4, v6
	v_lshrrev_b32_e32 v8, 19, v10
	v_mul_lo_u16_e32 v10, 26, v8
	v_sub_u16_e32 v10, v80, v10
	s_movk_i32 s2, 0x90
	s_mov_b32 s19, 0xbfee6f0e
	s_mov_b32 s10, 0x4755a5e
	;; [unrolled: 1-line block ×9, first 2 shown]
	v_mul_f64 v[65:66], v[51:52], v[22:23]
	v_mul_f64 v[67:68], v[49:50], v[22:23]
	;; [unrolled: 1-line block ×4, first 2 shown]
	v_fma_f64 v[49:50], v[49:50], v[20:21], -v[65:66]
	v_fma_f64 v[51:52], v[51:52], v[20:21], v[67:68]
	v_fma_f64 v[65:66], v[32:33], v[16:17], -v[69:70]
	v_mul_f64 v[73:74], v[38:39], v[247:248]
	v_mul_f64 v[82:83], v[36:37], v[247:248]
	;; [unrolled: 1-line block ×4, first 2 shown]
	v_fma_f64 v[67:68], v[34:35], v[16:17], v[71:72]
	v_add_f64 v[32:33], v[24:25], -v[49:50]
	v_add_f64 v[34:35], v[26:27], -v[51:52]
	v_mul_f64 v[88:89], v[63:64], v[253:254]
	v_mul_f64 v[90:91], v[61:62], v[253:254]
	v_fma_f64 v[69:70], v[36:37], v[245:246], -v[73:74]
	v_fma_f64 v[71:72], v[38:39], v[245:246], v[82:83]
	v_fma_f64 v[57:58], v[57:58], v[239:240], -v[84:85]
	v_fma_f64 v[59:60], v[59:60], v[239:240], v[86:87]
	v_add_f64 v[36:37], v[28:29], -v[65:66]
	v_add_f64 v[38:39], v[30:31], -v[67:68]
	v_fma_f64 v[61:62], v[61:62], v[251:252], -v[88:89]
	v_fma_f64 v[63:64], v[63:64], v[251:252], v[90:91]
	v_add_f64 v[49:50], v[40:41], -v[69:70]
	v_add_f64 v[51:52], v[42:43], -v[71:72]
	;; [unrolled: 1-line block ×4, first 2 shown]
	v_fma_f64 v[24:25], v[24:25], 2.0, -v[32:33]
	v_fma_f64 v[26:27], v[26:27], 2.0, -v[34:35]
	v_add_f64 v[61:62], v[53:54], -v[61:62]
	v_add_f64 v[63:64], v[55:56], -v[63:64]
	v_fma_f64 v[40:41], v[40:41], 2.0, -v[49:50]
	v_fma_f64 v[42:43], v[42:43], 2.0, -v[51:52]
	;; [unrolled: 1-line block ×8, first 2 shown]
	ds_write_b128 v199, v[32:35] offset:208
	ds_write_b128 v199, v[24:27]
	ds_write_b128 v1, v[28:31]
	buffer_store_dword v1, off, s[52:55], 0 offset:28 ; 4-byte Folded Spill
	ds_write_b128 v1, v[36:39] offset:208
	ds_write_b128 v200, v[40:43]
	ds_write_b128 v200, v[49:52] offset:208
	v_mad_legacy_u16 v1, v11, 26, v12
	v_lshlrev_b32_e32 v228, 4, v1
	v_mad_legacy_u16 v1, v13, 26, v14
	v_lshlrev_b32_e32 v233, 4, v1
	v_lshrrev_b16_e32 v1, 11, v44
	v_mul_lo_u16_e32 v2, 26, v1
	v_sub_u16_e32 v2, v206, v2
	v_and_b32_e32 v2, 0xff, v2
	v_lshlrev_b32_e32 v5, 4, v2
	ds_write_b128 v228, v[45:48]
	ds_write_b128 v228, v[57:60] offset:208
	ds_write_b128 v233, v[53:56]
	ds_write_b128 v233, v[61:64] offset:208
	s_waitcnt vmcnt(0) lgkmcnt(0)
	s_barrier
	global_load_dwordx4 v[36:39], v5, s[8:9] offset:208
	global_load_dwordx4 v[32:35], v7, s[8:9] offset:208
	v_mul_lo_u16_e32 v5, 26, v3
	v_sub_u16_e32 v5, v76, v5
	v_lshlrev_b32_e32 v7, 4, v5
	v_lshlrev_b32_e32 v11, 4, v10
	global_load_dwordx4 v[207:210], v7, s[8:9] offset:208
	global_load_dwordx4 v[40:43], v11, s[8:9] offset:208
	v_lshrrev_b32_e32 v7, 19, v9
	v_mul_lo_u16_e32 v9, 26, v7
	v_sub_u16_e32 v0, v0, v9
	v_lshlrev_b32_e32 v9, 4, v0
	global_load_dwordx4 v[11:14], v9, s[8:9] offset:208
	ds_read_b128 v[45:48], v172
	ds_read_b128 v[49:52], v172 offset:2496
	ds_read_b128 v[53:56], v172 offset:14976
	;; [unrolled: 1-line block ×9, first 2 shown]
	s_waitcnt vmcnt(0) lgkmcnt(0)
	s_barrier
	v_mul_u32_u24_e32 v1, 52, v1
	v_add_lshl_u32 v9, v1, v2, 4
	v_mad_legacy_u16 v1, v4, 52, v6
	v_mad_legacy_u16 v2, v3, 52, v5
	;; [unrolled: 1-line block ×4, first 2 shown]
	v_lshlrev_b32_e32 v205, 4, v1
	v_lshlrev_b32_e32 v2, 4, v2
	;; [unrolled: 1-line block ×4, first 2 shown]
	v_mul_f64 v[73:74], v[71:72], v[38:39]
	v_mul_f64 v[94:95], v[69:70], v[38:39]
	;; [unrolled: 1-line block ×8, first 2 shown]
	v_fma_f64 v[69:70], v[69:70], v[36:37], -v[73:74]
	v_fma_f64 v[71:72], v[71:72], v[36:37], v[94:95]
	v_mul_f64 v[108:109], v[92:93], v[13:14]
	v_mul_f64 v[110:111], v[90:91], v[13:14]
	v_fma_f64 v[73:74], v[53:54], v[32:33], -v[96:97]
	v_fma_f64 v[94:95], v[55:56], v[32:33], v[98:99]
	v_fma_f64 v[86:87], v[86:87], v[40:41], -v[104:105]
	v_fma_f64 v[88:89], v[88:89], v[40:41], v[106:107]
	;; [unrolled: 2-line block ×3, first 2 shown]
	v_fma_f64 v[90:91], v[90:91], v[11:12], -v[108:109]
	buffer_store_dword v11, off, s[52:55], 0 offset:12 ; 4-byte Folded Spill
	s_nop 0
	buffer_store_dword v12, off, s[52:55], 0 offset:16 ; 4-byte Folded Spill
	buffer_store_dword v13, off, s[52:55], 0 offset:20 ; 4-byte Folded Spill
	;; [unrolled: 1-line block ×3, first 2 shown]
	v_add_f64 v[53:54], v[45:46], -v[69:70]
	v_add_f64 v[55:56], v[47:48], -v[71:72]
	;; [unrolled: 1-line block ×9, first 2 shown]
	v_fma_f64 v[45:46], v[45:46], 2.0, -v[53:54]
	v_fma_f64 v[47:48], v[47:48], 2.0, -v[55:56]
	;; [unrolled: 1-line block ×9, first 2 shown]
	ds_write_b128 v9, v[53:56] offset:416
	buffer_store_dword v9, off, s[52:55], 0 offset:32 ; 4-byte Folded Spill
	ds_write_b128 v9, v[45:48]
	ds_write_b128 v205, v[49:52]
	ds_write_b128 v205, v[57:60] offset:416
	ds_write_b128 v2, v[61:64]
	buffer_store_dword v2, off, s[52:55], 0 offset:44 ; 4-byte Folded Spill
	ds_write_b128 v2, v[69:72] offset:416
	ds_write_b128 v1, v[65:68]
	buffer_store_dword v1, off, s[52:55], 0 offset:40 ; 4-byte Folded Spill
	v_fma_f64 v[92:93], v[92:93], v[11:12], v[110:111]
	v_add_f64 v[92:93], v[84:85], -v[92:93]
	v_fma_f64 v[84:85], v[84:85], 2.0, -v[92:93]
	ds_write_b128 v1, v[86:89] offset:416
	ds_write_b128 v0, v[82:85]
	buffer_store_dword v0, off, s[52:55], 0 offset:36 ; 4-byte Folded Spill
	ds_write_b128 v0, v[90:93] offset:416
	v_lshrrev_b16_e32 v0, 12, v44
	v_mul_lo_u16_e32 v1, 52, v0
	v_sub_u16_e32 v1, v206, v1
	v_mov_b32_e32 v45, s9
	v_and_b32_e32 v1, 0xff, v1
	v_mov_b32_e32 v44, s8
	v_mad_u64_u32 v[82:83], s[2:3], v1, s2, v[44:45]
	s_waitcnt vmcnt(0) lgkmcnt(0)
	s_barrier
	global_load_dwordx4 v[24:27], v[82:83], off offset:624
	global_load_dwordx4 v[10:13], v[82:83], off offset:640
	;; [unrolled: 1-line block ×9, first 2 shown]
	ds_read_b128 v[88:91], v172
	ds_read_b128 v[92:95], v172 offset:2496
	ds_read_b128 v[96:99], v172 offset:4992
	;; [unrolled: 1-line block ×9, first 2 shown]
	s_mov_b32 s2, 0x134454ff
	s_mov_b32 s3, 0x3fee6f0e
	;; [unrolled: 1-line block ×3, first 2 shown]
	v_mul_u32_u24_e32 v0, 0x208, v0
	v_add_lshl_u32 v223, v0, v1, 4
	s_waitcnt vmcnt(8) lgkmcnt(8)
	v_mul_f64 v[82:83], v[94:95], v[26:27]
	v_mul_f64 v[136:137], v[92:93], v[26:27]
	s_waitcnt vmcnt(7) lgkmcnt(7)
	v_mul_f64 v[138:139], v[98:99], v[12:13]
	v_mul_f64 v[140:141], v[96:97], v[12:13]
	;; [unrolled: 3-line block ×4, first 2 shown]
	v_fma_f64 v[82:83], v[92:93], v[24:25], -v[82:83]
	buffer_store_dword v24, off, s[52:55], 0 offset:96 ; 4-byte Folded Spill
	s_nop 0
	buffer_store_dword v25, off, s[52:55], 0 offset:100 ; 4-byte Folded Spill
	buffer_store_dword v26, off, s[52:55], 0 offset:104 ; 4-byte Folded Spill
	;; [unrolled: 1-line block ×3, first 2 shown]
	s_waitcnt vmcnt(8) lgkmcnt(4)
	v_mul_f64 v[150:151], v[110:111], v[74:75]
	v_mul_f64 v[152:153], v[108:109], v[74:75]
	s_waitcnt vmcnt(7) lgkmcnt(3)
	v_mul_f64 v[154:155], v[122:123], v[66:67]
	s_waitcnt vmcnt(5) lgkmcnt(1)
	v_mul_f64 v[162:163], v[130:131], v[70:71]
	v_mul_f64 v[156:157], v[120:121], v[66:67]
	;; [unrolled: 1-line block ×3, first 2 shown]
	s_waitcnt vmcnt(4) lgkmcnt(0)
	v_mul_f64 v[166:167], v[134:135], v[86:87]
	v_mul_f64 v[168:169], v[132:133], v[86:87]
	;; [unrolled: 1-line block ×4, first 2 shown]
	v_fma_f64 v[128:129], v[128:129], v[68:69], -v[162:163]
	v_fma_f64 v[124:125], v[124:125], v[56:57], -v[158:159]
	v_fma_f64 v[126:127], v[126:127], v[56:57], v[160:161]
	v_fma_f64 v[92:93], v[94:95], v[24:25], v[136:137]
	v_fma_f64 v[94:95], v[96:97], v[10:11], -v[138:139]
	buffer_store_dword v10, off, s[52:55], 0 offset:80 ; 4-byte Folded Spill
	s_nop 0
	buffer_store_dword v11, off, s[52:55], 0 offset:84 ; 4-byte Folded Spill
	buffer_store_dword v12, off, s[52:55], 0 offset:88 ; 4-byte Folded Spill
	buffer_store_dword v13, off, s[52:55], 0 offset:92 ; 4-byte Folded Spill
	v_fma_f64 v[96:97], v[98:99], v[10:11], v[140:141]
	v_fma_f64 v[98:99], v[100:101], v[6:7], -v[142:143]
	buffer_store_dword v6, off, s[52:55], 0 offset:64 ; 4-byte Folded Spill
	s_nop 0
	buffer_store_dword v7, off, s[52:55], 0 offset:68 ; 4-byte Folded Spill
	buffer_store_dword v8, off, s[52:55], 0 offset:72 ; 4-byte Folded Spill
	buffer_store_dword v9, off, s[52:55], 0 offset:76 ; 4-byte Folded Spill
	;; [unrolled: 7-line block ×3, first 2 shown]
	v_add_f64 v[146:147], v[94:95], v[128:129]
	s_waitcnt vmcnt(0)
	s_barrier
	v_add_f64 v[142:143], v[94:95], -v[102:103]
	v_fma_f64 v[104:105], v[106:107], v[2:3], v[148:149]
	v_fma_f64 v[106:107], v[108:109], v[72:73], -v[150:151]
	v_fma_f64 v[108:109], v[110:111], v[72:73], v[152:153]
	v_fma_f64 v[110:111], v[120:121], v[64:65], -v[154:155]
	v_fma_f64 v[120:121], v[122:123], v[64:65], v[156:157]
	v_fma_f64 v[122:123], v[130:131], v[68:69], v[164:165]
	v_fma_f64 v[130:131], v[132:133], v[84:85], -v[166:167]
	v_fma_f64 v[132:133], v[134:135], v[84:85], v[168:169]
	v_add_f64 v[134:135], v[88:89], v[94:95]
	v_add_f64 v[148:149], v[102:103], -v[94:95]
	v_add_f64 v[152:153], v[90:91], v[96:97]
	v_add_f64 v[136:137], v[102:103], v[110:111]
	v_add_f64 v[140:141], v[104:105], -v[120:121]
	v_add_f64 v[138:139], v[96:97], -v[122:123]
	;; [unrolled: 1-line block ×4, first 2 shown]
	v_add_f64 v[154:155], v[104:105], v[120:121]
	v_add_f64 v[156:157], v[102:103], -v[110:111]
	v_add_f64 v[102:103], v[134:135], v[102:103]
	v_fma_f64 v[134:135], v[136:137], -0.5, v[88:89]
	v_fma_f64 v[88:89], v[146:147], -0.5, v[88:89]
	v_add_f64 v[94:95], v[94:95], -v[128:129]
	v_add_f64 v[158:159], v[96:97], -v[104:105]
	v_add_f64 v[162:163], v[96:97], v[122:123]
	v_add_f64 v[96:97], v[104:105], -v[96:97]
	v_add_f64 v[166:167], v[106:107], v[124:125]
	v_add_f64 v[136:137], v[142:143], v[144:145]
	;; [unrolled: 1-line block ×4, first 2 shown]
	v_fma_f64 v[144:145], v[154:155], -0.5, v[90:91]
	v_add_f64 v[102:103], v[102:103], v[110:111]
	v_fma_f64 v[110:111], v[138:139], s[2:3], v[134:135]
	v_fma_f64 v[134:135], v[138:139], s[18:19], v[134:135]
	;; [unrolled: 1-line block ×4, first 2 shown]
	v_add_f64 v[160:161], v[122:123], -v[120:121]
	v_add_f64 v[164:165], v[82:83], v[98:99]
	v_add_f64 v[168:169], v[100:101], -v[132:133]
	v_fma_f64 v[90:91], v[162:163], -0.5, v[90:91]
	v_fma_f64 v[148:149], v[166:167], -0.5, v[82:83]
	v_fma_f64 v[152:153], v[94:95], s[18:19], v[144:145]
	v_add_f64 v[104:105], v[104:105], v[120:121]
	v_fma_f64 v[144:145], v[94:95], s[2:3], v[144:145]
	v_fma_f64 v[110:111], v[140:141], s[10:11], v[110:111]
	;; [unrolled: 1-line block ×5, first 2 shown]
	v_add_f64 v[146:147], v[158:159], v[160:161]
	v_fma_f64 v[154:155], v[156:157], s[2:3], v[90:91]
	v_fma_f64 v[138:139], v[156:157], s[20:21], v[152:153]
	v_add_f64 v[128:129], v[102:103], v[128:129]
	v_add_f64 v[150:151], v[104:105], v[122:123]
	v_fma_f64 v[102:103], v[156:157], s[10:11], v[144:145]
	v_fma_f64 v[110:111], v[136:137], s[16:17], v[110:111]
	;; [unrolled: 1-line block ×5, first 2 shown]
	v_add_f64 v[88:89], v[120:121], -v[122:123]
	v_fma_f64 v[90:91], v[156:157], s[18:19], v[90:91]
	v_add_f64 v[104:105], v[164:165], v[106:107]
	v_add_f64 v[120:121], v[98:99], v[130:131]
	v_fma_f64 v[122:123], v[168:169], s[2:3], v[148:149]
	v_add_f64 v[142:143], v[108:109], -v[126:127]
	v_add_f64 v[144:145], v[98:99], -v[106:107]
	v_add_f64 v[152:153], v[130:131], -v[124:125]
	v_fma_f64 v[154:155], v[94:95], s[20:21], v[154:155]
	v_add_f64 v[88:89], v[96:97], v[88:89]
	v_fma_f64 v[156:157], v[146:147], s[16:17], v[102:103]
	v_fma_f64 v[82:83], v[120:121], -0.5, v[82:83]
	v_fma_f64 v[90:91], v[94:95], s[10:11], v[90:91]
	v_add_f64 v[94:95], v[104:105], v[124:125]
	v_fma_f64 v[96:97], v[142:143], s[10:11], v[122:123]
	v_add_f64 v[102:103], v[144:145], v[152:153]
	v_add_f64 v[104:105], v[108:109], v[126:127]
	v_fma_f64 v[138:139], v[146:147], s[16:17], v[138:139]
	v_fma_f64 v[144:145], v[88:89], s[16:17], v[154:155]
	;; [unrolled: 1-line block ×5, first 2 shown]
	v_add_f64 v[146:147], v[94:95], v[130:131]
	v_add_f64 v[88:89], v[100:101], v[132:133]
	v_fma_f64 v[90:91], v[102:103], s[16:17], v[96:97]
	v_fma_f64 v[94:95], v[104:105], -0.5, v[92:93]
	v_add_f64 v[96:97], v[98:99], -v[130:131]
	v_fma_f64 v[104:105], v[142:143], s[20:21], v[120:121]
	v_fma_f64 v[120:121], v[168:169], s[10:11], v[122:123]
	v_add_f64 v[122:123], v[92:93], v[100:101]
	v_add_f64 v[152:153], v[106:107], -v[124:125]
	v_fma_f64 v[88:89], v[88:89], -0.5, v[92:93]
	v_add_f64 v[92:93], v[106:107], -v[98:99]
	v_add_f64 v[98:99], v[124:125], -v[130:131]
	v_fma_f64 v[106:107], v[96:97], s[18:19], v[94:95]
	v_add_f64 v[124:125], v[100:101], -v[108:109]
	v_add_f64 v[130:131], v[132:133], -v[126:127]
	v_fma_f64 v[82:83], v[142:143], s[2:3], v[82:83]
	v_fma_f64 v[94:95], v[96:97], s[2:3], v[94:95]
	v_add_f64 v[122:123], v[122:123], v[108:109]
	v_fma_f64 v[142:143], v[152:153], s[2:3], v[88:89]
	v_add_f64 v[100:101], v[108:109], -v[100:101]
	v_fma_f64 v[106:107], v[152:153], s[20:21], v[106:107]
	v_add_f64 v[108:109], v[126:127], -v[132:133]
	v_add_f64 v[124:125], v[124:125], v[130:131]
	v_fma_f64 v[88:89], v[152:153], s[18:19], v[88:89]
	v_add_f64 v[92:93], v[92:93], v[98:99]
	v_fma_f64 v[82:83], v[168:169], s[20:21], v[82:83]
	v_fma_f64 v[94:95], v[152:153], s[10:11], v[94:95]
	;; [unrolled: 1-line block ×3, first 2 shown]
	v_add_f64 v[100:101], v[100:101], v[108:109]
	v_fma_f64 v[106:107], v[124:125], s[16:17], v[106:107]
	v_fma_f64 v[88:89], v[96:97], s[10:11], v[88:89]
	v_fma_f64 v[96:97], v[102:103], s[16:17], v[104:105]
	v_fma_f64 v[102:103], v[92:93], s[16:17], v[120:121]
	v_fma_f64 v[82:83], v[92:93], s[16:17], v[82:83]
	v_fma_f64 v[92:93], v[124:125], s[16:17], v[94:95]
	v_add_f64 v[108:109], v[122:123], v[126:127]
	v_fma_f64 v[98:99], v[100:101], s[16:17], v[98:99]
	v_mul_f64 v[94:95], v[106:107], s[10:11]
	v_fma_f64 v[100:101], v[100:101], s[16:17], v[88:89]
	v_mul_f64 v[120:121], v[96:97], s[22:23]
	v_add_f64 v[88:89], v[128:129], v[146:147]
	v_mul_f64 v[130:131], v[92:93], s[22:23]
	v_add_f64 v[122:123], v[108:109], v[132:133]
	v_mul_f64 v[104:105], v[98:99], s[2:3]
	v_fma_f64 v[124:125], v[90:91], s[22:23], v[94:95]
	v_mul_f64 v[90:91], v[90:91], s[20:21]
	v_mul_f64 v[94:95], v[102:103], s[18:19]
	;; [unrolled: 1-line block ×4, first 2 shown]
	v_fma_f64 v[152:153], v[92:93], s[10:11], -v[120:121]
	v_fma_f64 v[160:161], v[96:97], s[20:21], -v[130:131]
	v_fma_f64 v[132:133], v[102:103], s[16:17], v[104:105]
	v_add_f64 v[92:93], v[110:111], v[124:125]
	v_fma_f64 v[154:155], v[106:107], s[22:23], v[90:91]
	v_fma_f64 v[158:159], v[98:99], s[16:17], v[94:95]
	v_fma_f64 v[142:143], v[100:101], s[2:3], -v[108:109]
	v_fma_f64 v[82:83], v[82:83], s[18:19], -v[126:127]
	v_add_f64 v[90:91], v[150:151], v[122:123]
	v_add_f64 v[104:105], v[134:135], v[152:153]
	;; [unrolled: 1-line block ×8, first 2 shown]
	v_add_f64 v[108:109], v[128:129], -v[146:147]
	v_add_f64 v[120:121], v[110:111], -v[124:125]
	;; [unrolled: 1-line block ×10, first 2 shown]
	ds_write_b128 v223, v[88:91]
	ds_write_b128 v223, v[92:95] offset:832
	ds_write_b128 v223, v[96:99] offset:1664
	;; [unrolled: 1-line block ×9, first 2 shown]
	s_waitcnt lgkmcnt(0)
	s_barrier
	ds_read_b128 v[126:129], v172
	ds_read_b128 v[122:125], v172 offset:2496
	ds_read_b128 v[150:153], v172 offset:16640
	ds_read_b128 v[130:133], v172 offset:19136
	ds_read_b128 v[162:165], v172 offset:8320
	ds_read_b128 v[136:139], v172 offset:4992
	ds_read_b128 v[158:161], v172 offset:10816
	ds_read_b128 v[154:157], v172 offset:13312
	ds_read_b128 v[140:143], v172 offset:21632
	v_cmp_gt_u16_e64 s[2:3], 52, v206
	s_and_saveexec_b64 s[10:11], s[2:3]
	s_cbranch_execz .LBB0_9
; %bb.8:
	ds_read_b128 v[146:149], v172 offset:7488
	ds_read_b128 v[116:119], v172 offset:15808
	;; [unrolled: 1-line block ×3, first 2 shown]
.LBB0_9:
	s_or_b64 exec, exec, s[10:11]
	v_lshlrev_b32_e32 v0, 5, v206
	v_mov_b32_e32 v1, s9
	v_add_co_u32_e32 v0, vcc, s8, v0
	v_addc_co_u32_e32 v2, vcc, 0, v1, vcc
	s_movk_i32 s9, 0x1fb0
	v_add_co_u32_e32 v82, vcc, s9, v0
	v_addc_co_u32_e32 v83, vcc, 0, v2, vcc
	s_movk_i32 s16, 0x1000
	v_add_co_u32_e32 v88, vcc, s16, v0
	v_lshlrev_b64 v[78:79], 5, v[78:79]
	v_addc_co_u32_e32 v89, vcc, 0, v2, vcc
	v_add_co_u32_e32 v0, vcc, s8, v78
	v_addc_co_u32_e32 v2, vcc, v1, v79, vcc
	v_add_co_u32_e32 v78, vcc, s9, v0
	v_addc_co_u32_e32 v79, vcc, 0, v2, vcc
	global_load_dwordx4 v[88:91], v[88:89], off offset:4016
	s_nop 0
	global_load_dwordx4 v[92:95], v[82:83], off offset:16
	v_add_co_u32_e32 v82, vcc, s16, v0
	v_lshlrev_b64 v[76:77], 5, v[76:77]
	v_addc_co_u32_e32 v83, vcc, 0, v2, vcc
	v_add_co_u32_e32 v0, vcc, s8, v76
	v_addc_co_u32_e32 v2, vcc, v1, v77, vcc
	v_add_co_u32_e32 v76, vcc, s9, v0
	v_addc_co_u32_e32 v77, vcc, 0, v2, vcc
	global_load_dwordx4 v[96:99], v[82:83], off offset:4016
	global_load_dwordx4 v[100:103], v[78:79], off offset:16
	v_add_co_u32_e32 v78, vcc, s16, v0
	v_addc_co_u32_e32 v79, vcc, 0, v2, vcc
	s_movk_i32 s10, 0xffcc
	v_add_co_u32_e32 v0, vcc, s10, v206
	v_addc_co_u32_e64 v2, s[10:11], 0, -1, vcc
	global_load_dwordx4 v[108:111], v[78:79], off offset:4016
	global_load_dwordx4 v[104:107], v[76:77], off offset:16
	v_cndmask_b32_e64 v77, v2, v81, s[2:3]
	v_cndmask_b32_e64 v76, v0, v80, s[2:3]
	v_lshlrev_b64 v[76:77], 5, v[76:77]
	s_mov_b32 s11, 0xbfebb67a
	v_add_co_u32_e32 v0, vcc, s8, v76
	v_addc_co_u32_e32 v1, vcc, v1, v77, vcc
	v_add_co_u32_e32 v76, vcc, s16, v0
	v_addc_co_u32_e32 v77, vcc, 0, v1, vcc
	global_load_dwordx4 v[2:5], v[76:77], off offset:4016
	v_add_co_u32_e32 v80, vcc, s9, v0
	v_addc_co_u32_e32 v81, vcc, 0, v1, vcc
	global_load_dwordx4 v[80:83], v[80:81], off offset:16
	s_mov_b32 s8, 0xe8584caa
	s_mov_b32 s9, 0x3febb67a
	;; [unrolled: 1-line block ×3, first 2 shown]
	s_waitcnt vmcnt(7) lgkmcnt(4)
	v_mul_f64 v[134:135], v[162:163], v[90:91]
	v_mul_f64 v[120:121], v[164:165], v[90:91]
	s_waitcnt vmcnt(6)
	v_mul_f64 v[144:145], v[152:153], v[94:95]
	v_mul_f64 v[166:167], v[150:151], v[94:95]
	v_fma_f64 v[134:135], v[164:165], v[88:89], v[134:135]
	v_fma_f64 v[120:121], v[162:163], v[88:89], -v[120:121]
	v_fma_f64 v[144:145], v[150:151], v[92:93], -v[144:145]
	v_fma_f64 v[150:151], v[152:153], v[92:93], v[166:167]
	s_waitcnt vmcnt(5) lgkmcnt(2)
	v_mul_f64 v[168:169], v[160:161], v[98:99]
	v_mul_f64 v[170:171], v[158:159], v[98:99]
	s_waitcnt vmcnt(4)
	v_mul_f64 v[175:176], v[130:131], v[102:103]
	v_mul_f64 v[173:174], v[132:133], v[102:103]
	v_fma_f64 v[152:153], v[158:159], v[96:97], -v[168:169]
	v_fma_f64 v[158:159], v[160:161], v[96:97], v[170:171]
	s_waitcnt vmcnt(3) lgkmcnt(1)
	v_mul_f64 v[177:178], v[156:157], v[110:111]
	s_waitcnt vmcnt(2) lgkmcnt(0)
	v_mul_f64 v[181:182], v[142:143], v[106:107]
	v_fma_f64 v[160:161], v[132:133], v[100:101], v[175:176]
	v_add_f64 v[132:133], v[120:121], v[144:145]
	v_mul_f64 v[179:180], v[154:155], v[110:111]
	v_mul_f64 v[183:184], v[140:141], v[106:107]
	v_fma_f64 v[130:131], v[130:131], v[100:101], -v[173:174]
	v_fma_f64 v[154:155], v[154:155], v[108:109], -v[177:178]
	;; [unrolled: 1-line block ×3, first 2 shown]
	v_add_f64 v[140:141], v[134:135], v[150:151]
	v_fma_f64 v[156:157], v[156:157], v[108:109], v[179:180]
	v_fma_f64 v[142:143], v[142:143], v[104:105], v[183:184]
	s_waitcnt vmcnt(1)
	v_mul_f64 v[185:186], v[118:119], v[4:5]
	v_mul_f64 v[187:188], v[116:117], v[4:5]
	s_waitcnt vmcnt(0)
	v_mul_f64 v[191:192], v[112:113], v[82:83]
	v_mul_f64 v[189:190], v[114:115], v[82:83]
	v_add_f64 v[175:176], v[156:157], -v[142:143]
	v_fma_f64 v[164:165], v[116:117], v[2:3], -v[185:186]
	buffer_store_dword v2, off, s[52:55], 0 offset:112 ; 4-byte Folded Spill
	s_nop 0
	buffer_store_dword v3, off, s[52:55], 0 offset:116 ; 4-byte Folded Spill
	buffer_store_dword v4, off, s[52:55], 0 offset:120 ; 4-byte Folded Spill
	;; [unrolled: 1-line block ×3, first 2 shown]
	v_add_f64 v[116:117], v[126:127], v[120:121]
	v_fma_f64 v[126:127], v[132:133], -0.5, v[126:127]
	v_add_f64 v[132:133], v[120:121], -v[144:145]
	v_fma_f64 v[170:171], v[114:115], v[80:81], v[191:192]
	v_add_f64 v[114:115], v[128:129], v[134:135]
	v_fma_f64 v[168:169], v[112:113], v[80:81], -v[189:190]
	v_fma_f64 v[128:129], v[140:141], -0.5, v[128:129]
	v_add_f64 v[140:141], v[122:123], v[152:153]
	v_add_f64 v[112:113], v[116:117], v[144:145]
	v_add_f64 v[144:145], v[158:159], -v[160:161]
	v_add_f64 v[114:115], v[114:115], v[150:151]
	v_fma_f64 v[166:167], v[118:119], v[2:3], v[187:188]
	v_add_f64 v[118:119], v[134:135], -v[150:151]
	v_add_f64 v[134:135], v[152:153], v[130:131]
	v_add_f64 v[150:151], v[154:155], v[162:163]
	v_add_f64 v[152:153], v[152:153], -v[130:131]
	v_fma_f64 v[116:117], v[118:119], s[8:9], v[126:127]
	v_fma_f64 v[120:121], v[118:119], s[10:11], v[126:127]
	v_add_f64 v[126:127], v[158:159], v[160:161]
	v_fma_f64 v[134:135], v[134:135], -0.5, v[122:123]
	v_add_f64 v[158:159], v[124:125], v[158:159]
	v_fma_f64 v[150:151], v[150:151], -0.5, v[136:137]
	v_fma_f64 v[118:119], v[132:133], s[10:11], v[128:129]
	v_fma_f64 v[122:123], v[132:133], s[8:9], v[128:129]
	v_fma_f64 v[173:174], v[126:127], -0.5, v[124:125]
	v_add_f64 v[124:125], v[140:141], v[130:131]
	v_add_f64 v[140:141], v[136:137], v[154:155]
	v_fma_f64 v[128:129], v[144:145], s[8:9], v[134:135]
	v_fma_f64 v[132:133], v[144:145], s[10:11], v[134:135]
	v_add_f64 v[126:127], v[158:159], v[160:161]
	v_add_f64 v[158:159], v[156:157], v[142:143]
	v_fma_f64 v[144:145], v[175:176], s[10:11], v[150:151]
	v_fma_f64 v[130:131], v[152:153], s[10:11], v[173:174]
	;; [unrolled: 1-line block ×3, first 2 shown]
	v_add_f64 v[136:137], v[140:141], v[162:163]
	v_add_f64 v[152:153], v[164:165], v[168:169]
	v_fma_f64 v[140:141], v[175:176], s[8:9], v[150:151]
	v_add_f64 v[150:151], v[166:167], v[170:171]
	v_add_f64 v[156:157], v[138:139], v[156:157]
	v_fma_f64 v[158:159], v[158:159], -0.5, v[138:139]
	v_add_f64 v[154:155], v[154:155], -v[162:163]
	v_add_f64 v[160:161], v[146:147], v[164:165]
	v_add_f64 v[173:174], v[166:167], -v[170:171]
	v_fma_f64 v[162:163], v[152:153], -0.5, v[146:147]
	v_add_f64 v[166:167], v[148:149], v[166:167]
	v_fma_f64 v[175:176], v[150:151], -0.5, v[148:149]
	v_add_f64 v[164:165], v[164:165], -v[168:169]
	v_add_f64 v[138:139], v[156:157], v[142:143]
	v_fma_f64 v[142:143], v[154:155], s[10:11], v[158:159]
	v_fma_f64 v[146:147], v[154:155], s[8:9], v[158:159]
	v_add_f64 v[148:149], v[160:161], v[168:169]
	v_fma_f64 v[152:153], v[173:174], s[8:9], v[162:163]
	v_fma_f64 v[156:157], v[173:174], s[10:11], v[162:163]
	;; [unrolled: 3-line block ×3, first 2 shown]
	ds_write_b128 v172, v[112:115]
	ds_write_b128 v172, v[116:119] offset:8320
	ds_write_b128 v172, v[120:123] offset:16640
	;; [unrolled: 1-line block ×8, first 2 shown]
	s_and_saveexec_b64 s[8:9], s[2:3]
	s_cbranch_execz .LBB0_11
; %bb.10:
	ds_write_b128 v172, v[148:151] offset:7488
	ds_write_b128 v172, v[152:155] offset:15808
	;; [unrolled: 1-line block ×3, first 2 shown]
.LBB0_11:
	s_or_b64 exec, exec, s[8:9]
	s_waitcnt vmcnt(0) lgkmcnt(0)
	s_barrier
	s_and_saveexec_b64 s[8:9], s[0:1]
	s_cbranch_execz .LBB0_13
; %bb.12:
	v_add_co_u32_e32 v161, vcc, s14, v255
	v_mov_b32_e32 v0, s15
	v_addc_co_u32_e32 v160, vcc, 0, v0, vcc
	v_add_co_u32_e32 v170, vcc, 0x6180, v161
	v_addc_co_u32_e32 v171, vcc, 0, v160, vcc
	v_add_co_u32_e32 v166, vcc, 0x6000, v161
	v_addc_co_u32_e32 v167, vcc, 0, v160, vcc
	global_load_dwordx4 v[166:169], v[166:167], off offset:384
	ds_read_b128 v[162:165], v172
	s_movk_i32 s10, 0x7000
	s_waitcnt vmcnt(0) lgkmcnt(0)
	v_mul_f64 v[173:174], v[164:165], v[168:169]
	v_fma_f64 v[173:174], v[162:163], v[166:167], -v[173:174]
	v_mul_f64 v[162:163], v[162:163], v[168:169]
	v_fma_f64 v[175:176], v[164:165], v[166:167], v[162:163]
	global_load_dwordx4 v[166:169], v[170:171], off offset:1920
	ds_write_b128 v172, v[173:176]
	ds_read_b128 v[162:165], v255 offset:1920
	s_waitcnt vmcnt(0) lgkmcnt(0)
	v_mul_f64 v[173:174], v[164:165], v[168:169]
	v_fma_f64 v[173:174], v[162:163], v[166:167], -v[173:174]
	v_mul_f64 v[162:163], v[162:163], v[168:169]
	v_fma_f64 v[175:176], v[164:165], v[166:167], v[162:163]
	global_load_dwordx4 v[166:169], v[170:171], off offset:3840
	ds_read_b128 v[162:165], v255 offset:3840
	ds_write_b128 v255, v[173:176] offset:1920
	s_waitcnt vmcnt(0) lgkmcnt(1)
	v_mul_f64 v[170:171], v[164:165], v[168:169]
	v_fma_f64 v[173:174], v[162:163], v[166:167], -v[170:171]
	v_mul_f64 v[162:163], v[162:163], v[168:169]
	v_add_co_u32_e32 v170, vcc, s10, v161
	v_addc_co_u32_e32 v171, vcc, 0, v160, vcc
	s_mov_b32 s10, 0x8000
	v_fma_f64 v[175:176], v[164:165], v[166:167], v[162:163]
	global_load_dwordx4 v[166:169], v[170:171], off offset:2048
	ds_read_b128 v[162:165], v255 offset:5760
	ds_write_b128 v255, v[173:176] offset:3840
	s_waitcnt vmcnt(0) lgkmcnt(1)
	v_mul_f64 v[173:174], v[164:165], v[168:169]
	v_fma_f64 v[173:174], v[162:163], v[166:167], -v[173:174]
	v_mul_f64 v[162:163], v[162:163], v[168:169]
	v_fma_f64 v[175:176], v[164:165], v[166:167], v[162:163]
	global_load_dwordx4 v[166:169], v[170:171], off offset:3968
	ds_read_b128 v[162:165], v255 offset:7680
	ds_write_b128 v255, v[173:176] offset:5760
	s_waitcnt vmcnt(0) lgkmcnt(1)
	v_mul_f64 v[170:171], v[164:165], v[168:169]
	v_fma_f64 v[173:174], v[162:163], v[166:167], -v[170:171]
	v_mul_f64 v[162:163], v[162:163], v[168:169]
	v_add_co_u32_e32 v170, vcc, s10, v161
	v_addc_co_u32_e32 v171, vcc, 0, v160, vcc
	s_mov_b32 s10, 0x9000
	v_fma_f64 v[175:176], v[164:165], v[166:167], v[162:163]
	global_load_dwordx4 v[166:169], v[170:171], off offset:1792
	ds_read_b128 v[162:165], v255 offset:9600
	ds_write_b128 v255, v[173:176] offset:7680
	;; [unrolled: 19-line block ×4, first 2 shown]
	s_waitcnt vmcnt(0) lgkmcnt(1)
	v_mul_f64 v[173:174], v[164:165], v[168:169]
	v_fma_f64 v[173:174], v[162:163], v[166:167], -v[173:174]
	v_mul_f64 v[162:163], v[162:163], v[168:169]
	v_fma_f64 v[175:176], v[164:165], v[166:167], v[162:163]
	global_load_dwordx4 v[166:169], v[170:171], off offset:3200
	ds_read_b128 v[162:165], v255 offset:19200
	ds_write_b128 v255, v[173:176] offset:17280
	s_waitcnt vmcnt(0) lgkmcnt(1)
	v_mul_f64 v[170:171], v[164:165], v[168:169]
	v_fma_f64 v[173:174], v[162:163], v[166:167], -v[170:171]
	v_mul_f64 v[162:163], v[162:163], v[168:169]
	v_add_co_u32_e32 v170, vcc, s10, v161
	v_addc_co_u32_e32 v171, vcc, 0, v160, vcc
	v_fma_f64 v[175:176], v[164:165], v[166:167], v[162:163]
	global_load_dwordx4 v[166:169], v[170:171], off offset:1024
	ds_read_b128 v[162:165], v255 offset:21120
	ds_write_b128 v255, v[173:176] offset:19200
	s_waitcnt vmcnt(0) lgkmcnt(1)
	v_mul_f64 v[160:161], v[164:165], v[168:169]
	v_fma_f64 v[160:161], v[162:163], v[166:167], -v[160:161]
	v_mul_f64 v[162:163], v[162:163], v[168:169]
	v_fma_f64 v[162:163], v[164:165], v[166:167], v[162:163]
	global_load_dwordx4 v[164:167], v[170:171], off offset:2944
	ds_write_b128 v255, v[160:163] offset:21120
	ds_read_b128 v[160:163], v255 offset:23040
	s_waitcnt vmcnt(0) lgkmcnt(0)
	v_mul_f64 v[168:169], v[162:163], v[166:167]
	v_fma_f64 v[168:169], v[160:161], v[164:165], -v[168:169]
	v_mul_f64 v[160:161], v[160:161], v[166:167]
	v_fma_f64 v[170:171], v[162:163], v[164:165], v[160:161]
	ds_write_b128 v255, v[168:171] offset:23040
.LBB0_13:
	s_or_b64 exec, exec, s[8:9]
	s_waitcnt lgkmcnt(0)
	s_barrier
	s_and_saveexec_b64 s[8:9], s[0:1]
	s_cbranch_execz .LBB0_15
; %bb.14:
	ds_read_b128 v[112:115], v172
	ds_read_b128 v[116:119], v172 offset:1920
	ds_read_b128 v[120:123], v172 offset:3840
	;; [unrolled: 1-line block ×12, first 2 shown]
.LBB0_15:
	s_or_b64 exec, exec, s[8:9]
	s_waitcnt lgkmcnt(0)
	v_add_f64 v[177:178], v[118:119], -v[226:227]
	s_mov_b32 s10, 0x42a4c3d2
	s_mov_b32 s11, 0xbfea55e2
	v_add_f64 v[173:174], v[116:117], v[224:225]
	v_add_f64 v[175:176], v[118:119], v[226:227]
	v_add_f64 v[185:186], v[122:123], -v[158:159]
	s_mov_b32 s8, 0x1ea71119
	s_mov_b32 s24, 0x2ef20147
	v_mul_f64 v[0:1], v[177:178], s[10:11]
	s_mov_b32 s9, 0x3fe22d96
	s_mov_b32 s25, 0xbfedeba7
	v_add_f64 v[183:184], v[116:117], -v[224:225]
	v_mul_f64 v[2:3], v[175:176], s[8:9]
	v_add_f64 v[179:180], v[120:121], v[156:157]
	v_add_f64 v[181:182], v[122:123], v[158:159]
	v_mul_f64 v[4:5], v[185:186], s[24:25]
	v_fma_f64 v[160:161], v[173:174], s[8:9], -v[0:1]
	s_mov_b32 s18, 0x66966769
	s_mov_b32 s20, 0xb2365da1
	;; [unrolled: 1-line block ×4, first 2 shown]
	v_fma_f64 v[162:163], v[183:184], s[10:11], v[2:3]
	v_mul_f64 v[24:25], v[177:178], s[18:19]
	v_add_f64 v[193:194], v[120:121], -v[156:157]
	v_add_f64 v[160:161], v[112:113], v[160:161]
	v_mul_f64 v[8:9], v[181:182], s[20:21]
	v_fma_f64 v[168:169], v[179:180], s[20:21], -v[4:5]
	s_mov_b32 s16, 0xebaa3ed8
	s_mov_b32 s26, 0x4bc48dbf
	;; [unrolled: 1-line block ×4, first 2 shown]
	v_add_f64 v[162:163], v[114:115], v[162:163]
	v_mul_f64 v[26:27], v[175:176], s[16:17]
	v_fma_f64 v[164:165], v[173:174], s[16:17], -v[24:25]
	v_add_f64 v[160:161], v[168:169], v[160:161]
	v_fma_f64 v[168:169], v[193:194], s[24:25], v[8:9]
	v_mul_f64 v[14:15], v[185:186], s[26:27]
	v_add_f64 v[197:198], v[126:127], -v[154:155]
	s_mov_b32 s22, 0x93053d00
	s_mov_b32 s23, 0xbfef11f4
	;; [unrolled: 1-line block ×4, first 2 shown]
	v_add_f64 v[164:165], v[112:113], v[164:165]
	v_fma_f64 v[166:167], v[183:184], s[18:19], v[26:27]
	v_add_f64 v[162:163], v[168:169], v[162:163]
	v_mul_f64 v[30:31], v[181:182], s[22:23]
	v_fma_f64 v[168:169], v[179:180], s[22:23], -v[14:15]
	v_add_f64 v[187:188], v[124:125], v[152:153]
	v_add_f64 v[189:190], v[126:127], v[154:155]
	v_mul_f64 v[48:49], v[197:198], s[42:43]
	v_add_f64 v[195:196], v[124:125], -v[152:153]
	v_add_f64 v[166:167], v[114:115], v[166:167]
	v_mul_f64 v[6:7], v[197:198], s[26:27]
	v_add_f64 v[213:214], v[130:131], -v[150:151]
	v_add_f64 v[164:165], v[168:169], v[164:165]
	v_fma_f64 v[168:169], v[193:194], s[26:27], v[30:31]
	v_mul_f64 v[52:53], v[189:190], s[20:21]
	v_fma_f64 v[170:171], v[187:188], s[20:21], -v[48:49]
	s_mov_b32 s40, 0x24c2f84
	s_mov_b32 s41, 0x3fe5384d
	v_mul_f64 v[12:13], v[189:190], s[22:23]
	v_add_f64 v[201:202], v[128:129], v[148:149]
	v_add_f64 v[203:204], v[130:131], v[150:151]
	;; [unrolled: 1-line block ×3, first 2 shown]
	v_fma_f64 v[168:169], v[187:188], s[22:23], -v[6:7]
	v_add_f64 v[164:165], v[170:171], v[164:165]
	v_fma_f64 v[170:171], v[195:196], s[42:43], v[52:53]
	v_mul_f64 v[10:11], v[213:214], s[40:41]
	v_add_f64 v[215:216], v[128:129], -v[148:149]
	s_mov_b32 s35, 0x3fddbe06
	v_mul_f64 v[44:45], v[203:204], s[28:29]
	s_mov_b32 s34, 0x4267c47c
	v_add_f64 v[160:161], v[168:169], v[160:161]
	v_fma_f64 v[168:169], v[195:196], s[26:27], v[12:13]
	v_add_f64 v[166:167], v[170:171], v[166:167]
	v_fma_f64 v[170:171], v[201:202], s[28:29], -v[10:11]
	v_mul_f64 v[60:61], v[213:214], s[34:35]
	s_mov_b32 s30, 0xe00740e9
	s_mov_b32 s31, 0x3fec55a7
	v_mul_f64 v[62:63], v[203:204], s[30:31]
	v_add_f64 v[237:238], v[134:135], -v[146:147]
	v_add_f64 v[162:163], v[168:169], v[162:163]
	s_mov_b32 s45, 0x3fefc445
	v_add_f64 v[160:161], v[170:171], v[160:161]
	v_fma_f64 v[170:171], v[215:216], s[40:41], v[44:45]
	s_mov_b32 s44, s18
	v_add_f64 v[219:220], v[132:133], v[144:145]
	v_add_f64 v[221:222], v[134:135], v[146:147]
	v_mul_f64 v[46:47], v[237:238], s[44:45]
	v_add_f64 v[229:230], v[132:133], -v[144:145]
	v_mul_f64 v[28:29], v[237:238], s[10:11]
	v_add_f64 v[249:250], v[138:139], -v[142:143]
	v_add_f64 v[162:163], v[170:171], v[162:163]
	v_fma_f64 v[170:171], v[201:202], s[30:31], -v[60:61]
	v_add_f64 v[231:232], v[136:137], v[140:141]
	v_mul_f64 v[54:55], v[221:222], s[16:17]
	v_mul_f64 v[76:77], v[221:222], s[8:9]
	v_add_f64 v[235:236], v[138:139], v[142:143]
	v_add_f64 v[243:244], v[136:137], -v[140:141]
	v_mul_f64 v[50:51], v[249:250], s[34:35]
	s_mov_b32 s38, s40
	v_add_f64 v[164:165], v[170:171], v[164:165]
	v_fma_f64 v[170:171], v[215:216], s[34:35], v[62:63]
	v_mul_f64 v[211:212], v[249:250], s[38:39]
	v_mul_f64 v[78:79], v[235:236], s[30:31]
	;; [unrolled: 1-line block ×3, first 2 shown]
	s_barrier
	v_add_f64 v[166:167], v[170:171], v[166:167]
	v_fma_f64 v[170:171], v[219:220], s[16:17], -v[46:47]
	v_add_f64 v[160:161], v[170:171], v[160:161]
	v_fma_f64 v[170:171], v[229:230], s[44:45], v[54:55]
	v_add_f64 v[162:163], v[170:171], v[162:163]
	v_fma_f64 v[170:171], v[219:220], s[8:9], -v[28:29]
	v_add_f64 v[164:165], v[170:171], v[164:165]
	v_fma_f64 v[170:171], v[229:230], s[10:11], v[76:77]
	;; [unrolled: 4-line block ×4, first 2 shown]
	v_add_f64 v[166:167], v[170:171], v[166:167]
	s_and_saveexec_b64 s[36:37], s[0:1]
	s_cbranch_execz .LBB0_17
; %bb.16:
	v_mul_f64 v[168:169], v[173:174], s[8:9]
	v_mul_f64 v[170:171], v[193:194], s[26:27]
	buffer_store_dword v168, off, s[52:55], 0 offset:272 ; 4-byte Folded Spill
	s_nop 0
	buffer_store_dword v169, off, s[52:55], 0 offset:276 ; 4-byte Folded Spill
	v_mul_f64 v[168:169], v[183:184], s[10:11]
	buffer_store_dword v168, off, s[52:55], 0 offset:304 ; 4-byte Folded Spill
	s_nop 0
	buffer_store_dword v169, off, s[52:55], 0 offset:308 ; 4-byte Folded Spill
	;; [unrolled: 4-line block ×6, first 2 shown]
	buffer_store_dword v228, off, s[52:55], 0 offset:184 ; 4-byte Folded Spill
	buffer_store_dword v233, off, s[52:55], 0 offset:188 ; 4-byte Folded Spill
	;; [unrolled: 1-line block ×3, first 2 shown]
	s_nop 0
	buffer_store_dword v31, off, s[52:55], 0 offset:404 ; 4-byte Folded Spill
	buffer_store_dword v224, off, s[52:55], 0 offset:208 ; 4-byte Folded Spill
	s_nop 0
	buffer_store_dword v225, off, s[52:55], 0 offset:212 ; 4-byte Folded Spill
	buffer_store_dword v226, off, s[52:55], 0 offset:216 ; 4-byte Folded Spill
	buffer_store_dword v227, off, s[52:55], 0 offset:220 ; 4-byte Folded Spill
	v_mul_f64 v[30:31], v[179:180], s[22:23]
	v_mul_f64 v[224:225], v[183:184], s[26:27]
	;; [unrolled: 1-line block ×4, first 2 shown]
	buffer_store_dword v30, off, s[52:55], 0 offset:344 ; 4-byte Folded Spill
	s_nop 0
	buffer_store_dword v31, off, s[52:55], 0 offset:348 ; 4-byte Folded Spill
	v_mul_f64 v[30:31], v[187:188], s[22:23]
	buffer_store_dword v30, off, s[52:55], 0 offset:240 ; 4-byte Folded Spill
	s_nop 0
	buffer_store_dword v31, off, s[52:55], 0 offset:244 ; 4-byte Folded Spill
	v_mul_f64 v[30:31], v[195:196], s[26:27]
	;; [unrolled: 4-line block ×3, first 2 shown]
	buffer_store_dword v30, off, s[52:55], 0 offset:392 ; 4-byte Folded Spill
	s_nop 0
	buffer_store_dword v31, off, s[52:55], 0 offset:396 ; 4-byte Folded Spill
	buffer_store_dword v239, off, s[52:55], 0 offset:144 ; 4-byte Folded Spill
	s_nop 0
	buffer_store_dword v240, off, s[52:55], 0 offset:148 ; 4-byte Folded Spill
	buffer_store_dword v241, off, s[52:55], 0 offset:152 ; 4-byte Folded Spill
	;; [unrolled: 1-line block ×3, first 2 shown]
	v_mul_f64 v[30:31], v[195:196], s[42:43]
	v_mul_f64 v[239:240], v[193:194], s[34:35]
	v_fma_f64 v[241:242], v[175:176], s[22:23], v[224:225]
	s_mov_b32 s43, 0x3fea55e2
	s_mov_b32 s42, s10
	v_fma_f64 v[224:225], v[175:176], s[22:23], -v[224:225]
	buffer_store_dword v30, off, s[52:55], 0 offset:424 ; 4-byte Folded Spill
	s_nop 0
	buffer_store_dword v31, off, s[52:55], 0 offset:428 ; 4-byte Folded Spill
	v_mul_f64 v[30:31], v[201:202], s[28:29]
	v_fma_f64 v[168:169], v[181:182], s[30:31], v[239:240]
	v_add_f64 v[241:242], v[114:115], v[241:242]
	v_fma_f64 v[239:240], v[181:182], s[30:31], -v[239:240]
	v_add_f64 v[224:225], v[114:115], v[224:225]
	buffer_store_dword v30, off, s[52:55], 0 offset:248 ; 4-byte Folded Spill
	s_nop 0
	buffer_store_dword v31, off, s[52:55], 0 offset:252 ; 4-byte Folded Spill
	v_mul_f64 v[30:31], v[215:216], s[40:41]
	v_add_f64 v[168:169], v[168:169], v[241:242]
	v_mul_f64 v[241:242], v[213:214], s[42:43]
	v_add_f64 v[224:225], v[239:240], v[224:225]
	buffer_store_dword v30, off, s[52:55], 0 offset:312 ; 4-byte Folded Spill
	s_nop 0
	buffer_store_dword v31, off, s[52:55], 0 offset:316 ; 4-byte Folded Spill
	buffer_store_dword v245, off, s[52:55], 0 offset:160 ; 4-byte Folded Spill
	s_nop 0
	buffer_store_dword v246, off, s[52:55], 0 offset:164 ; 4-byte Folded Spill
	buffer_store_dword v247, off, s[52:55], 0 offset:168 ; 4-byte Folded Spill
	;; [unrolled: 1-line block ×3, first 2 shown]
	v_mul_f64 v[30:31], v[201:202], s[30:31]
	v_mul_f64 v[245:246], v[185:186], s[34:35]
	v_fma_f64 v[247:248], v[173:174], s[22:23], -v[226:227]
	buffer_store_dword v76, off, s[52:55], 0 offset:408 ; 4-byte Folded Spill
	s_nop 0
	buffer_store_dword v77, off, s[52:55], 0 offset:412 ; 4-byte Folded Spill
	buffer_store_dword v78, off, s[52:55], 0 offset:336 ; 4-byte Folded Spill
	s_nop 0
	buffer_store_dword v79, off, s[52:55], 0 offset:340 ; 4-byte Folded Spill
	;; [unrolled: 3-line block ×3, first 2 shown]
	buffer_store_dword v82, off, s[52:55], 0 offset:200 ; 4-byte Folded Spill
	buffer_store_dword v83, off, s[52:55], 0 offset:204 ; 4-byte Folded Spill
	v_mul_f64 v[76:77], v[197:198], s[38:39]
	v_mul_f64 v[80:81], v[215:216], s[42:43]
	buffer_store_dword v30, off, s[52:55], 0 offset:416 ; 4-byte Folded Spill
	s_nop 0
	buffer_store_dword v31, off, s[52:55], 0 offset:420 ; 4-byte Folded Spill
	v_mul_f64 v[30:31], v[215:216], s[34:35]
	v_fma_f64 v[78:79], v[179:180], s[30:31], -v[245:246]
	v_add_f64 v[247:248], v[112:113], v[247:248]
	v_fma_f64 v[82:83], v[189:190], s[28:29], v[233:234]
	buffer_store_dword v44, off, s[52:55], 0 offset:320 ; 4-byte Folded Spill
	s_nop 0
	buffer_store_dword v45, off, s[52:55], 0 offset:324 ; 4-byte Folded Spill
	buffer_store_dword v46, off, s[52:55], 0 offset:256 ; 4-byte Folded Spill
	s_nop 0
	buffer_store_dword v47, off, s[52:55], 0 offset:260 ; 4-byte Folded Spill
	;; [unrolled: 3-line block ×4, first 2 shown]
	v_mov_b32_e32 v47, v39
	buffer_store_dword v30, off, s[52:55], 0 offset:448 ; 4-byte Folded Spill
	s_nop 0
	buffer_store_dword v31, off, s[52:55], 0 offset:452 ; 4-byte Folded Spill
	v_mul_f64 v[30:31], v[219:220], s[16:17]
	v_mov_b32_e32 v46, v38
	v_mov_b32_e32 v45, v37
	;; [unrolled: 1-line block ×7, first 2 shown]
	v_fma_f64 v[251:252], v[187:188], s[28:29], -v[76:77]
	v_add_f64 v[78:79], v[78:79], v[247:248]
	v_mul_f64 v[247:248], v[229:230], s[24:25]
	v_fma_f64 v[0:1], v[203:204], s[8:9], v[80:81]
	v_add_f64 v[2:3], v[82:83], v[168:169]
	buffer_store_dword v30, off, s[52:55], 0 offset:280 ; 4-byte Folded Spill
	s_nop 0
	buffer_store_dword v31, off, s[52:55], 0 offset:284 ; 4-byte Folded Spill
	v_mul_f64 v[30:31], v[229:230], s[44:45]
	v_mul_f64 v[82:83], v[237:238], s[24:25]
	v_fma_f64 v[168:169], v[201:202], s[8:9], -v[241:242]
	v_add_f64 v[78:79], v[251:252], v[78:79]
	v_mul_f64 v[251:252], v[243:244], s[44:45]
	v_fma_f64 v[253:254], v[221:222], s[20:21], v[247:248]
	v_add_f64 v[0:1], v[0:1], v[2:3]
	buffer_store_dword v30, off, s[52:55], 0 offset:384 ; 4-byte Folded Spill
	s_nop 0
	buffer_store_dword v31, off, s[52:55], 0 offset:388 ; 4-byte Folded Spill
	v_mul_f64 v[30:31], v[219:220], s[8:9]
	v_mul_f64 v[2:3], v[249:250], s[44:45]
	v_fma_f64 v[191:192], v[219:220], s[20:21], -v[82:83]
	v_fma_f64 v[233:234], v[189:190], s[28:29], -v[233:234]
	v_add_f64 v[78:79], v[168:169], v[78:79]
	v_fma_f64 v[239:240], v[235:236], s[16:17], v[251:252]
	v_add_f64 v[0:1], v[253:254], v[0:1]
	buffer_store_dword v30, off, s[52:55], 0 offset:440 ; 4-byte Folded Spill
	s_nop 0
	buffer_store_dword v31, off, s[52:55], 0 offset:444 ; 4-byte Folded Spill
	v_fma_f64 v[253:254], v[231:232], s[16:17], -v[2:3]
	v_fma_f64 v[80:81], v[203:204], s[8:9], -v[80:81]
	v_add_f64 v[224:225], v[233:234], v[224:225]
	v_add_f64 v[78:79], v[191:192], v[78:79]
	v_fma_f64 v[226:227], v[173:174], s[22:23], v[226:227]
	v_add_f64 v[30:31], v[239:240], v[0:1]
	v_mul_f64 v[239:240], v[183:184], s[38:39]
	v_mov_b32_e32 v192, v29
	v_fma_f64 v[0:1], v[221:222], s[20:21], -v[247:248]
	v_mov_b32_e32 v191, v28
	v_add_f64 v[80:81], v[80:81], v[224:225]
	v_add_f64 v[28:29], v[253:254], v[78:79]
	v_fma_f64 v[78:79], v[179:180], s[30:31], v[245:246]
	v_mul_f64 v[224:225], v[177:178], s[38:39]
	v_add_f64 v[226:227], v[112:113], v[226:227]
	v_fma_f64 v[245:246], v[235:236], s[16:17], -v[251:252]
	v_mul_f64 v[247:248], v[193:194], s[44:45]
	v_fma_f64 v[251:252], v[175:176], s[28:29], v[239:240]
	buffer_store_dword v28, off, s[52:55], 0 offset:224 ; 4-byte Folded Spill
	s_nop 0
	buffer_store_dword v29, off, s[52:55], 0 offset:228 ; 4-byte Folded Spill
	buffer_store_dword v30, off, s[52:55], 0 offset:232 ; 4-byte Folded Spill
	;; [unrolled: 1-line block ×3, first 2 shown]
	v_add_f64 v[0:1], v[0:1], v[80:81]
	v_mul_f64 v[80:81], v[185:186], s[44:45]
	v_fma_f64 v[253:254], v[173:174], s[28:29], -v[224:225]
	v_add_f64 v[78:79], v[78:79], v[226:227]
	buffer_store_dword v199, off, s[52:55], 0 offset:176 ; 4-byte Folded Spill
	buffer_store_dword v200, off, s[52:55], 0 offset:180 ; 4-byte Folded Spill
	v_mul_f64 v[199:200], v[195:196], s[10:11]
	v_fma_f64 v[226:227], v[181:182], s[16:17], v[247:248]
	v_add_f64 v[251:252], v[114:115], v[251:252]
	s_mov_b32 s45, 0x3fcea1e5
	buffer_store_dword v4, off, s[52:55], 0 offset:456 ; 4-byte Folded Spill
	s_nop 0
	buffer_store_dword v5, off, s[52:55], 0 offset:460 ; 4-byte Folded Spill
	buffer_store_dword v6, off, s[52:55], 0 offset:368 ; 4-byte Folded Spill
	s_nop 0
	buffer_store_dword v7, off, s[52:55], 0 offset:372 ; 4-byte Folded Spill
	s_mov_b32 s44, s26
	buffer_store_dword v8, off, s[52:55], 0 offset:472 ; 4-byte Folded Spill
	s_nop 0
	buffer_store_dword v9, off, s[52:55], 0 offset:476 ; 4-byte Folded Spill
	buffer_store_dword v10, off, s[52:55], 0 offset:360 ; 4-byte Folded Spill
	s_nop 0
	buffer_store_dword v11, off, s[52:55], 0 offset:364 ; 4-byte Folded Spill
	v_fma_f64 v[76:77], v[187:188], s[28:29], v[76:77]
	v_mul_f64 v[4:5], v[197:198], s[10:11]
	v_fma_f64 v[6:7], v[179:180], s[16:17], -v[80:81]
	v_add_f64 v[253:254], v[112:113], v[253:254]
	v_mul_f64 v[8:9], v[215:216], s[44:45]
	v_fma_f64 v[10:11], v[189:190], s[8:9], v[199:200]
	v_add_f64 v[226:227], v[226:227], v[251:252]
	buffer_store_dword v12, off, s[52:55], 0 offset:464 ; 4-byte Folded Spill
	s_nop 0
	buffer_store_dword v13, off, s[52:55], 0 offset:468 ; 4-byte Folded Spill
	v_mov_b32_e32 v169, v15
	v_fma_f64 v[241:242], v[201:202], s[8:9], v[241:242]
	v_mul_f64 v[251:252], v[213:214], s[44:45]
	v_fma_f64 v[12:13], v[187:188], s[8:9], -v[4:5]
	v_add_f64 v[6:7], v[6:7], v[253:254]
	v_mov_b32_e32 v168, v14
	v_add_f64 v[14:15], v[76:77], v[78:79]
	v_mul_f64 v[76:77], v[229:230], s[34:35]
	v_fma_f64 v[78:79], v[203:204], s[22:23], v[8:9]
	v_add_f64 v[10:11], v[10:11], v[226:227]
	buffer_store_dword v16, off, s[52:55], 0 offset:128 ; 4-byte Folded Spill
	s_nop 0
	buffer_store_dword v17, off, s[52:55], 0 offset:132 ; 4-byte Folded Spill
	buffer_store_dword v18, off, s[52:55], 0 offset:136 ; 4-byte Folded Spill
	;; [unrolled: 1-line block ×3, first 2 shown]
	v_fma_f64 v[82:83], v[219:220], s[20:21], v[82:83]
	v_mul_f64 v[253:254], v[237:238], s[34:35]
	v_fma_f64 v[226:227], v[201:202], s[22:23], -v[251:252]
	v_add_f64 v[6:7], v[12:13], v[6:7]
	v_add_f64 v[12:13], v[241:242], v[14:15]
	v_mul_f64 v[14:15], v[243:244], s[24:25]
	v_fma_f64 v[241:242], v[221:222], s[30:31], v[76:77]
	v_add_f64 v[10:11], v[78:79], v[10:11]
	v_fma_f64 v[18:19], v[175:176], s[28:29], -v[239:240]
	v_mul_f64 v[78:79], v[249:250], s[24:25]
	v_fma_f64 v[16:17], v[219:220], s[30:31], -v[253:254]
	v_add_f64 v[6:7], v[226:227], v[6:7]
	v_fma_f64 v[2:3], v[231:232], s[16:17], v[2:3]
	v_add_f64 v[12:13], v[82:83], v[12:13]
	v_fma_f64 v[82:83], v[235:236], s[20:21], v[14:15]
	v_add_f64 v[10:11], v[241:242], v[10:11]
	v_fma_f64 v[247:248], v[181:182], s[16:17], -v[247:248]
	v_add_f64 v[18:19], v[114:115], v[18:19]
	v_fma_f64 v[239:240], v[231:232], s[20:21], -v[78:79]
	v_add_f64 v[6:7], v[16:17], v[6:7]
	v_add_f64 v[226:227], v[245:246], v[0:1]
	v_fma_f64 v[0:1], v[173:174], s[28:29], v[224:225]
	v_add_f64 v[224:225], v[2:3], v[12:13]
	v_add_f64 v[241:242], v[82:83], v[10:11]
	v_mul_f64 v[2:3], v[183:184], s[24:25]
	v_fma_f64 v[10:11], v[189:190], s[8:9], -v[199:200]
	v_add_f64 v[12:13], v[247:248], v[18:19]
	v_add_f64 v[239:240], v[239:240], v[6:7]
	v_fma_f64 v[6:7], v[179:180], s[16:17], v[80:81]
	v_add_f64 v[0:1], v[112:113], v[0:1]
	v_mul_f64 v[16:17], v[193:194], s[40:41]
	v_fma_f64 v[8:9], v[203:204], s[22:23], -v[8:9]
	v_fma_f64 v[18:19], v[175:176], s[20:21], v[2:3]
	v_mul_f64 v[82:83], v[185:186], s[40:41]
	v_add_f64 v[10:11], v[10:11], v[12:13]
	v_mul_f64 v[12:13], v[177:178], s[24:25]
	v_fma_f64 v[76:77], v[221:222], s[30:31], -v[76:77]
	v_add_f64 v[0:1], v[6:7], v[0:1]
	v_mul_f64 v[6:7], v[195:196], s[34:35]
	v_fma_f64 v[80:81], v[181:182], s[28:29], v[16:17]
	v_add_f64 v[18:19], v[114:115], v[18:19]
	v_fma_f64 v[245:246], v[201:202], s[22:23], v[251:252]
	v_fma_f64 v[251:252], v[179:180], s[28:29], -v[82:83]
	v_fma_f64 v[199:200], v[173:174], s[20:21], -v[12:13]
	v_add_f64 v[8:9], v[8:9], v[10:11]
	v_fma_f64 v[14:15], v[235:236], s[20:21], -v[14:15]
	v_fma_f64 v[247:248], v[189:190], s[30:31], v[6:7]
	v_fma_f64 v[4:5], v[187:188], s[8:9], v[4:5]
	v_add_f64 v[18:19], v[80:81], v[18:19]
	v_mul_f64 v[80:81], v[197:198], s[34:35]
	v_fma_f64 v[10:11], v[219:220], s[30:31], v[253:254]
	v_add_f64 v[199:200], v[112:113], v[199:200]
	v_add_f64 v[8:9], v[76:77], v[8:9]
	v_mul_f64 v[253:254], v[229:230], s[44:45]
	v_fma_f64 v[76:77], v[231:232], s[20:21], v[78:79]
	v_add_f64 v[0:1], v[4:5], v[0:1]
	v_add_f64 v[18:19], v[247:248], v[18:19]
	v_fma_f64 v[247:248], v[187:188], s[30:31], -v[80:81]
	v_mul_f64 v[4:5], v[215:216], s[18:19]
	v_add_f64 v[199:200], v[251:252], v[199:200]
	v_mul_f64 v[251:252], v[213:214], s[18:19]
	v_fma_f64 v[78:79], v[221:222], s[22:23], v[253:254]
	v_mov_b32_e32 v28, v207
	v_add_f64 v[0:1], v[245:246], v[0:1]
	v_mov_b32_e32 v29, v208
	v_mov_b32_e32 v30, v209
	v_fma_f64 v[245:246], v[203:204], s[16:17], v[4:5]
	v_add_f64 v[199:200], v[247:248], v[199:200]
	v_add_f64 v[247:248], v[14:15], v[8:9]
	buffer_load_dword v8, off, s[52:55], 0 offset:352 ; 4-byte Folded Reload
	buffer_load_dword v9, off, s[52:55], 0 offset:356 ; 4-byte Folded Reload
	v_mov_b32_e32 v31, v210
	v_mov_b32_e32 v210, v43
	;; [unrolled: 1-line block ×4, first 2 shown]
	v_add_f64 v[18:19], v[245:246], v[18:19]
	v_mov_b32_e32 v207, v40
	v_mov_b32_e32 v43, v35
	;; [unrolled: 1-line block ×7, first 2 shown]
	v_add_f64 v[18:19], v[78:79], v[18:19]
	v_mov_b32_e32 v33, v21
	v_mov_b32_e32 v32, v20
	v_fma_f64 v[20:21], v[201:202], s[16:17], -v[251:252]
	v_mul_f64 v[14:15], v[243:244], s[42:43]
	v_fma_f64 v[2:3], v[175:176], s[20:21], -v[2:3]
	v_fma_f64 v[16:17], v[181:182], s[28:29], -v[16:17]
	v_fma_f64 v[6:7], v[189:190], s[30:31], -v[6:7]
	v_fma_f64 v[4:5], v[203:204], s[16:17], -v[4:5]
	v_fma_f64 v[12:13], v[173:174], s[20:21], v[12:13]
	v_fma_f64 v[82:83], v[179:180], s[28:29], v[82:83]
	v_add_f64 v[20:21], v[20:21], v[199:200]
	v_fma_f64 v[199:200], v[235:236], s[8:9], v[14:15]
	v_add_f64 v[2:3], v[114:115], v[2:3]
	v_add_f64 v[0:1], v[10:11], v[0:1]
	v_mul_f64 v[10:11], v[229:230], s[10:11]
	v_fma_f64 v[14:15], v[235:236], s[8:9], -v[14:15]
	v_add_f64 v[12:13], v[112:113], v[12:13]
	v_mul_f64 v[22:23], v[243:244], s[34:35]
	s_mov_b32 s35, 0xbfddbe06
	v_mul_f64 v[233:234], v[231:232], s[30:31]
	v_add_f64 v[2:3], v[16:17], v[2:3]
	v_add_f64 v[245:246], v[76:77], v[0:1]
	v_mul_f64 v[0:1], v[237:238], s[44:45]
	v_mul_f64 v[16:17], v[249:250], s[42:43]
	v_add_f64 v[12:13], v[82:83], v[12:13]
	v_add_f64 v[2:3], v[6:7], v[2:3]
	v_fma_f64 v[76:77], v[219:220], s[22:23], -v[0:1]
	v_fma_f64 v[0:1], v[219:220], s[22:23], v[0:1]
	v_add_f64 v[2:3], v[4:5], v[2:3]
	v_add_f64 v[20:21], v[76:77], v[20:21]
	v_mul_f64 v[76:77], v[243:244], s[38:39]
	s_waitcnt vmcnt(0)
	v_add_f64 v[78:79], v[26:27], -v[8:9]
	buffer_load_dword v8, off, s[52:55], 0 offset:400 ; 4-byte Folded Reload
	buffer_load_dword v9, off, s[52:55], 0 offset:404 ; 4-byte Folded Reload
	v_add_f64 v[78:79], v[114:115], v[78:79]
	s_waitcnt vmcnt(0)
	v_add_f64 v[26:27], v[8:9], -v[170:171]
	v_add_f64 v[170:171], v[199:200], v[18:19]
	buffer_load_dword v18, off, s[52:55], 0 offset:328 ; 4-byte Folded Reload
	buffer_load_dword v19, off, s[52:55], 0 offset:332 ; 4-byte Folded Reload
	v_fma_f64 v[199:200], v[231:232], s[8:9], -v[16:17]
	v_mul_f64 v[8:9], v[231:232], s[28:29]
	v_add_f64 v[26:27], v[26:27], v[78:79]
	v_fma_f64 v[78:79], v[187:188], s[30:31], v[80:81]
	v_add_f64 v[8:9], v[8:9], v[211:212]
	v_add_f64 v[12:13], v[78:79], v[12:13]
	;; [unrolled: 1-line block ×4, first 2 shown]
	v_mul_f64 v[120:121], v[213:214], s[24:25]
	v_add_f64 v[78:79], v[78:79], v[124:125]
	v_add_f64 v[78:79], v[78:79], v[128:129]
	;; [unrolled: 1-line block ×6, first 2 shown]
	s_waitcnt vmcnt(0)
	v_add_f64 v[18:19], v[18:19], v[24:25]
	buffer_load_dword v24, off, s[52:55], 0 offset:424 ; 4-byte Folded Reload
	buffer_load_dword v25, off, s[52:55], 0 offset:428 ; 4-byte Folded Reload
	;; [unrolled: 1-line block ×4, first 2 shown]
	v_add_f64 v[78:79], v[78:79], v[148:149]
	v_add_f64 v[18:19], v[112:113], v[18:19]
	;; [unrolled: 1-line block ×4, first 2 shown]
	s_waitcnt vmcnt(2)
	v_add_f64 v[24:25], v[52:53], -v[24:25]
	buffer_load_dword v52, off, s[52:55], 0 offset:448 ; 4-byte Folded Reload
	buffer_load_dword v53, off, s[52:55], 0 offset:452 ; 4-byte Folded Reload
	;; [unrolled: 1-line block ×4, first 2 shown]
	s_waitcnt vmcnt(4)
	v_add_f64 v[6:7], v[6:7], v[168:169]
	v_add_f64 v[168:169], v[199:200], v[20:21]
	;; [unrolled: 1-line block ×3, first 2 shown]
	v_fma_f64 v[26:27], v[221:222], s[22:23], -v[253:254]
	v_add_f64 v[6:7], v[6:7], v[18:19]
	v_fma_f64 v[18:19], v[201:202], s[16:17], v[251:252]
	v_mov_b32_e32 v254, v39
	v_mov_b32_e32 v253, v38
	v_mov_b32_e32 v252, v37
	v_mov_b32_e32 v251, v36
	v_mov_b32_e32 v36, v44
	v_mov_b32_e32 v37, v45
	v_mov_b32_e32 v38, v46
	v_mov_b32_e32 v39, v47
	buffer_load_dword v44, off, s[52:55], 0 offset:408 ; 4-byte Folded Reload
	buffer_load_dword v45, off, s[52:55], 0 offset:412 ; 4-byte Folded Reload
	v_add_f64 v[2:3], v[26:27], v[2:3]
	buffer_load_dword v26, off, s[52:55], 0 offset:416 ; 4-byte Folded Reload
	buffer_load_dword v27, off, s[52:55], 0 offset:420 ; 4-byte Folded Reload
	s_waitcnt vmcnt(6)
	v_add_f64 v[80:81], v[62:63], -v[52:53]
	s_waitcnt vmcnt(4)
	v_add_f64 v[4:5], v[4:5], v[48:49]
	v_add_f64 v[24:25], v[80:81], v[24:25]
	;; [unrolled: 1-line block ×4, first 2 shown]
	buffer_load_dword v18, off, s[52:55], 0 offset:440 ; 4-byte Folded Reload
	buffer_load_dword v19, off, s[52:55], 0 offset:444 ; 4-byte Folded Reload
	v_add_f64 v[12:13], v[217:218], -v[76:77]
	v_add_f64 v[76:77], v[114:115], v[118:119]
	v_mul_f64 v[118:119], v[237:238], s[38:39]
	v_add_f64 v[6:7], v[0:1], v[6:7]
	s_waitcnt vmcnt(4)
	v_add_f64 v[10:11], v[44:45], -v[10:11]
	v_add_f64 v[76:77], v[76:77], v[122:123]
	s_waitcnt vmcnt(2)
	v_add_f64 v[26:27], v[26:27], v[60:61]
	v_mul_f64 v[122:123], v[185:186], s[10:11]
	v_add_f64 v[10:11], v[10:11], v[24:25]
	buffer_load_dword v20, off, s[52:55], 0 offset:304 ; 4-byte Folded Reload
	buffer_load_dword v21, off, s[52:55], 0 offset:308 ; 4-byte Folded Reload
	;; [unrolled: 1-line block ×4, first 2 shown]
	v_add_f64 v[4:5], v[26:27], v[4:5]
	v_add_f64 v[76:77], v[76:77], v[126:127]
	v_mul_f64 v[126:127], v[197:198], s[18:19]
	v_add_f64 v[199:200], v[12:13], v[10:11]
	v_add_f64 v[76:77], v[76:77], v[130:131]
	;; [unrolled: 1-line block ×8, first 2 shown]
	s_waitcnt vmcnt(4)
	v_add_f64 v[18:19], v[18:19], v[191:192]
	v_add_f64 v[191:192], v[14:15], v[2:3]
	buffer_load_dword v0, off, s[52:55], 0 offset:296 ; 4-byte Folded Reload
	buffer_load_dword v1, off, s[52:55], 0 offset:300 ; 4-byte Folded Reload
	;; [unrolled: 1-line block ×8, first 2 shown]
	v_fma_f64 v[14:15], v[231:232], s[8:9], v[16:17]
	v_mul_f64 v[16:17], v[183:184], s[34:35]
	v_add_f64 v[76:77], v[76:77], v[158:159]
	v_add_f64 v[4:5], v[18:19], v[4:5]
	v_fma_f64 v[26:27], v[175:176], s[30:31], v[16:17]
	v_fma_f64 v[16:17], v[175:176], s[30:31], -v[16:17]
	v_add_f64 v[197:198], v[8:9], v[4:5]
	s_waitcnt vmcnt(8)
	v_add_f64 v[20:21], v[24:25], -v[20:21]
	v_add_f64 v[26:27], v[114:115], v[26:27]
	v_add_f64 v[16:17], v[114:115], v[16:17]
	s_waitcnt vmcnt(4)
	v_add_f64 v[0:1], v[2:3], -v[0:1]
	s_waitcnt vmcnt(0)
	v_add_f64 v[10:11], v[10:11], v[12:13]
	buffer_load_dword v12, off, s[52:55], 0 offset:336 ; 4-byte Folded Reload
	buffer_load_dword v13, off, s[52:55], 0 offset:340 ; 4-byte Folded Reload
	v_add_f64 v[2:3], v[114:115], v[20:21]
	buffer_load_dword v18, off, s[52:55], 0 offset:384 ; 4-byte Folded Reload
	buffer_load_dword v19, off, s[52:55], 0 offset:388 ; 4-byte Folded Reload
	v_fma_f64 v[114:115], v[179:180], s[8:9], v[122:123]
	v_fma_f64 v[122:123], v[179:180], s[8:9], -v[122:123]
	v_add_f64 v[10:11], v[112:113], v[10:11]
	v_add_f64 v[0:1], v[0:1], v[2:3]
	s_waitcnt vmcnt(2)
	v_add_f64 v[12:13], v[12:13], -v[22:23]
	buffer_load_dword v20, off, s[52:55], 0 offset:288 ; 4-byte Folded Reload
	buffer_load_dword v21, off, s[52:55], 0 offset:292 ; 4-byte Folded Reload
	;; [unrolled: 1-line block ×4, first 2 shown]
	s_waitcnt vmcnt(4)
	v_add_f64 v[18:19], v[54:55], -v[18:19]
	s_waitcnt vmcnt(0)
	v_add_f64 v[20:21], v[22:23], -v[20:21]
	buffer_load_dword v2, off, s[52:55], 0 offset:264 ; 4-byte Folded Reload
	buffer_load_dword v3, off, s[52:55], 0 offset:268 ; 4-byte Folded Reload
	;; [unrolled: 1-line block ×4, first 2 shown]
	v_add_f64 v[0:1], v[20:21], v[0:1]
	s_waitcnt vmcnt(0)
	v_add_f64 v[2:3], v[2:3], v[22:23]
	buffer_load_dword v22, off, s[52:55], 0 offset:312 ; 4-byte Folded Reload
	buffer_load_dword v23, off, s[52:55], 0 offset:316 ; 4-byte Folded Reload
	;; [unrolled: 1-line block ×8, first 2 shown]
	v_add_f64 v[2:3], v[2:3], v[10:11]
	v_mul_f64 v[10:11], v[195:196], s[18:19]
	v_fma_f64 v[82:83], v[189:190], s[16:17], v[10:11]
	v_fma_f64 v[10:11], v[189:190], s[16:17], -v[10:11]
	v_add_f64 v[189:190], v[14:15], v[6:7]
	s_waitcnt vmcnt(4)
	v_add_f64 v[22:23], v[24:25], -v[22:23]
	s_waitcnt vmcnt(0)
	v_add_f64 v[20:21], v[20:21], v[44:45]
	v_mul_f64 v[24:25], v[193:194], s[10:11]
	v_add_f64 v[0:1], v[22:23], v[0:1]
	buffer_load_dword v22, off, s[52:55], 0 offset:248 ; 4-byte Folded Reload
	buffer_load_dword v23, off, s[52:55], 0 offset:252 ; 4-byte Folded Reload
	;; [unrolled: 1-line block ×4, first 2 shown]
	v_fma_f64 v[80:81], v[181:182], s[8:9], v[24:25]
	v_add_f64 v[2:3], v[20:21], v[2:3]
	v_mul_f64 v[20:21], v[215:216], s[24:25]
	v_fma_f64 v[24:25], v[181:182], s[8:9], -v[24:25]
	v_add_f64 v[0:1], v[18:19], v[0:1]
	v_add_f64 v[26:27], v[80:81], v[26:27]
	v_fma_f64 v[80:81], v[203:204], s[20:21], v[20:21]
	v_add_f64 v[16:17], v[24:25], v[16:17]
	v_fma_f64 v[24:25], v[187:188], s[16:17], v[126:127]
	v_fma_f64 v[20:21], v[203:204], s[20:21], -v[20:21]
	v_add_f64 v[116:117], v[12:13], v[0:1]
	v_mul_f64 v[0:1], v[243:244], s[26:27]
	v_add_f64 v[26:27], v[82:83], v[26:27]
	v_mul_f64 v[82:83], v[249:250], s[26:27]
	v_add_f64 v[12:13], v[233:234], v[50:51]
	v_add_f64 v[10:11], v[10:11], v[16:17]
	v_fma_f64 v[16:17], v[201:202], s[20:21], v[120:121]
	v_add_f64 v[26:27], v[80:81], v[26:27]
	v_mul_f64 v[80:81], v[177:178], s[34:35]
	v_add_f64 v[10:11], v[20:21], v[10:11]
	v_fma_f64 v[20:21], v[219:220], s[28:29], v[118:119]
	v_fma_f64 v[124:125], v[173:174], s[30:31], v[80:81]
	v_fma_f64 v[80:81], v[173:174], s[30:31], -v[80:81]
	v_add_f64 v[124:125], v[112:113], v[124:125]
	v_add_f64 v[80:81], v[112:113], v[80:81]
	;; [unrolled: 1-line block ×3, first 2 shown]
	v_fma_f64 v[114:115], v[187:188], s[16:17], -v[126:127]
	v_add_f64 v[80:81], v[122:123], v[80:81]
	v_add_f64 v[24:25], v[24:25], v[112:113]
	v_fma_f64 v[112:113], v[201:202], s[20:21], -v[120:121]
	v_add_f64 v[80:81], v[114:115], v[80:81]
	v_add_f64 v[16:17], v[16:17], v[24:25]
	v_fma_f64 v[24:25], v[219:220], s[28:29], -v[118:119]
	v_add_f64 v[80:81], v[112:113], v[80:81]
	v_fma_f64 v[112:113], v[235:236], s[22:23], -v[0:1]
	v_add_f64 v[16:17], v[20:21], v[16:17]
	v_fma_f64 v[20:21], v[235:236], s[22:23], v[0:1]
	v_add_f64 v[24:25], v[24:25], v[80:81]
	s_waitcnt vmcnt(0)
	v_add_f64 v[22:23], v[22:23], v[44:45]
	buffer_load_dword v18, off, s[52:55], 0 offset:256 ; 4-byte Folded Reload
	buffer_load_dword v19, off, s[52:55], 0 offset:260 ; 4-byte Folded Reload
	;; [unrolled: 1-line block ×4, first 2 shown]
	v_add_f64 v[2:3], v[22:23], v[2:3]
	v_mul_f64 v[22:23], v[229:230], s[38:39]
	s_waitcnt vmcnt(0)
	v_add_f64 v[18:19], v[44:45], v[18:19]
	v_add_f64 v[18:19], v[18:19], v[2:3]
	v_fma_f64 v[2:3], v[221:222], s[28:29], v[22:23]
	v_fma_f64 v[22:23], v[221:222], s[28:29], -v[22:23]
	v_add_f64 v[114:115], v[12:13], v[18:19]
	v_add_f64 v[26:27], v[2:3], v[26:27]
	;; [unrolled: 1-line block ×3, first 2 shown]
	v_fma_f64 v[22:23], v[231:232], s[22:23], v[82:83]
	v_fma_f64 v[82:83], v[231:232], s[22:23], -v[82:83]
	buffer_load_dword v0, off, s[52:55], 0 offset:208 ; 4-byte Folded Reload
	buffer_load_dword v1, off, s[52:55], 0 offset:212 ; 4-byte Folded Reload
	;; [unrolled: 1-line block ×6, first 2 shown]
	v_add_f64 v[124:125], v[20:21], v[26:27]
	v_add_f64 v[120:121], v[112:113], v[10:11]
	;; [unrolled: 1-line block ×3, first 2 shown]
	buffer_load_dword v16, off, s[52:55], 0 offset:128 ; 4-byte Folded Reload
	buffer_load_dword v17, off, s[52:55], 0 offset:132 ; 4-byte Folded Reload
	;; [unrolled: 1-line block ×4, first 2 shown]
	v_add_f64 v[122:123], v[82:83], v[24:25]
	buffer_load_dword v80, off, s[52:55], 0 offset:192 ; 4-byte Folded Reload
	buffer_load_dword v81, off, s[52:55], 0 offset:196 ; 4-byte Folded Reload
	;; [unrolled: 1-line block ×5, first 2 shown]
	v_mov_b32_e32 v20, v32
	v_mov_b32_e32 v21, v33
	;; [unrolled: 1-line block ×16, first 2 shown]
	s_waitcnt vmcnt(11)
	v_add_f64 v[2:3], v[76:77], v[2:3]
	v_add_f64 v[0:1], v[78:79], v[0:1]
	s_waitcnt vmcnt(0)
	v_lshlrev_b32_e32 v4, 4, v4
	ds_write_b128 v4, v[0:3]
	ds_write_b128 v4, v[118:121] offset:16
	ds_write_b128 v4, v[114:117] offset:32
	;; [unrolled: 1-line block ×3, first 2 shown]
	buffer_load_dword v200, off, s[52:55], 0 offset:180 ; 4-byte Folded Reload
	buffer_load_dword v199, off, s[52:55], 0 offset:176 ; 4-byte Folded Reload
	ds_write_b128 v4, v[189:192] offset:64
	ds_write_b128 v4, v[245:248] offset:80
	buffer_load_dword v245, off, s[52:55], 0 offset:160 ; 4-byte Folded Reload
	buffer_load_dword v246, off, s[52:55], 0 offset:164 ; 4-byte Folded Reload
	;; [unrolled: 1-line block ×4, first 2 shown]
	ds_write_b128 v4, v[224:227] offset:96
	buffer_load_dword v0, off, s[52:55], 0 offset:224 ; 4-byte Folded Reload
	buffer_load_dword v1, off, s[52:55], 0 offset:228 ; 4-byte Folded Reload
	;; [unrolled: 1-line block ×4, first 2 shown]
	s_waitcnt vmcnt(0)
	ds_write_b128 v4, v[0:3] offset:112
	ds_write_b128 v4, v[239:242] offset:128
	buffer_load_dword v239, off, s[52:55], 0 offset:144 ; 4-byte Folded Reload
	buffer_load_dword v240, off, s[52:55], 0 offset:148 ; 4-byte Folded Reload
	;; [unrolled: 1-line block ×4, first 2 shown]
	ds_write_b128 v4, v[168:171] offset:144
	ds_write_b128 v4, v[164:167] offset:160
	;; [unrolled: 1-line block ×4, first 2 shown]
.LBB0_17:
	s_or_b64 exec, exec, s[36:37]
	s_waitcnt vmcnt(0) lgkmcnt(0)
	s_barrier
	ds_read_b128 v[0:3], v172 offset:12480
	ds_read_b128 v[112:115], v172
	ds_read_b128 v[116:119], v172 offset:2496
	ds_read_b128 v[120:123], v172 offset:14976
	;; [unrolled: 1-line block ×4, first 2 shown]
	s_waitcnt lgkmcnt(5)
	v_mul_f64 v[4:5], v[22:23], v[2:3]
	v_mul_f64 v[6:7], v[22:23], v[0:1]
	ds_read_b128 v[132:135], v172 offset:4992
	ds_read_b128 v[136:139], v172 offset:7488
	;; [unrolled: 1-line block ×4, first 2 shown]
	s_waitcnt lgkmcnt(0)
	s_barrier
	v_mul_f64 v[8:9], v[18:19], v[122:123]
	v_mul_f64 v[10:11], v[18:19], v[120:121]
	v_fma_f64 v[0:1], v[20:21], v[0:1], v[4:5]
	v_fma_f64 v[2:3], v[20:21], v[2:3], -v[6:7]
	v_mul_f64 v[4:5], v[247:248], v[126:127]
	v_mul_f64 v[6:7], v[247:248], v[124:125]
	;; [unrolled: 1-line block ×4, first 2 shown]
	v_fma_f64 v[8:9], v[16:17], v[120:121], v[8:9]
	v_fma_f64 v[10:11], v[16:17], v[122:123], -v[10:11]
	v_add_f64 v[0:1], v[112:113], -v[0:1]
	v_add_f64 v[2:3], v[114:115], -v[2:3]
	v_fma_f64 v[20:21], v[245:246], v[124:125], v[4:5]
	v_fma_f64 v[22:23], v[245:246], v[126:127], -v[6:7]
	v_mul_f64 v[16:17], v[253:254], v[146:147]
	v_mul_f64 v[18:19], v[253:254], v[144:145]
	v_fma_f64 v[24:25], v[239:240], v[140:141], v[12:13]
	v_fma_f64 v[26:27], v[239:240], v[142:143], -v[14:15]
	v_fma_f64 v[4:5], v[112:113], 2.0, -v[0:1]
	v_fma_f64 v[6:7], v[114:115], 2.0, -v[2:3]
	v_add_f64 v[8:9], v[116:117], -v[8:9]
	v_add_f64 v[10:11], v[118:119], -v[10:11]
	ds_write_b128 v199, v[4:7]
	ds_write_b128 v199, v[0:3] offset:208
	buffer_load_dword v0, off, s[52:55], 0 offset:28 ; 4-byte Folded Reload
	v_fma_f64 v[76:77], v[251:252], v[144:145], v[16:17]
	v_fma_f64 v[78:79], v[251:252], v[146:147], -v[18:19]
	v_add_f64 v[12:13], v[132:133], -v[20:21]
	v_add_f64 v[14:15], v[134:135], -v[22:23]
	;; [unrolled: 1-line block ×4, first 2 shown]
	v_fma_f64 v[112:113], v[116:117], 2.0, -v[8:9]
	v_fma_f64 v[114:115], v[118:119], 2.0, -v[10:11]
	v_add_f64 v[20:21], v[128:129], -v[76:77]
	v_add_f64 v[22:23], v[130:131], -v[78:79]
	v_fma_f64 v[116:117], v[132:133], 2.0, -v[12:13]
	v_fma_f64 v[118:119], v[134:135], 2.0, -v[14:15]
	v_fma_f64 v[120:121], v[136:137], 2.0, -v[16:17]
	v_fma_f64 v[122:123], v[138:139], 2.0, -v[18:19]
	s_mov_b32 s10, 0x134454ff
	s_mov_b32 s11, 0xbfee6f0e
	v_fma_f64 v[124:125], v[128:129], 2.0, -v[20:21]
	v_fma_f64 v[126:127], v[130:131], 2.0, -v[22:23]
	s_mov_b32 s20, 0x4755a5e
	s_mov_b32 s9, 0x3fee6f0e
	;; [unrolled: 1-line block ×10, first 2 shown]
	s_waitcnt vmcnt(0)
	ds_write_b128 v0, v[112:115]
	ds_write_b128 v0, v[8:11] offset:208
	ds_write_b128 v200, v[116:119]
	ds_write_b128 v200, v[12:15] offset:208
	;; [unrolled: 2-line block ×4, first 2 shown]
	s_waitcnt lgkmcnt(0)
	s_barrier
	ds_read_b128 v[0:3], v172 offset:12480
	ds_read_b128 v[4:7], v172
	ds_read_b128 v[8:11], v172 offset:2496
	ds_read_b128 v[12:15], v172 offset:14976
	;; [unrolled: 1-line block ×4, first 2 shown]
	s_waitcnt lgkmcnt(5)
	v_mul_f64 v[24:25], v[38:39], v[2:3]
	v_mul_f64 v[26:27], v[38:39], v[0:1]
	s_waitcnt lgkmcnt(2)
	v_mul_f64 v[30:31], v[34:35], v[14:15]
	ds_read_b128 v[112:115], v172 offset:4992
	ds_read_b128 v[116:119], v172 offset:7488
	;; [unrolled: 1-line block ×4, first 2 shown]
	v_mul_f64 v[76:77], v[34:35], v[12:13]
	s_waitcnt lgkmcnt(1)
	v_mul_f64 v[28:29], v[42:43], v[122:123]
	v_fma_f64 v[0:1], v[36:37], v[0:1], v[24:25]
	v_fma_f64 v[2:3], v[36:37], v[2:3], -v[26:27]
	v_fma_f64 v[12:13], v[32:33], v[12:13], v[30:31]
	v_mul_f64 v[24:25], v[209:210], v[18:19]
	v_mul_f64 v[26:27], v[209:210], v[16:17]
	;; [unrolled: 1-line block ×3, first 2 shown]
	buffer_load_dword v36, off, s[52:55], 0 offset:12 ; 4-byte Folded Reload
	buffer_load_dword v37, off, s[52:55], 0 offset:16 ; 4-byte Folded Reload
	;; [unrolled: 1-line block ×4, first 2 shown]
	s_waitcnt vmcnt(0) lgkmcnt(0)
	s_barrier
	v_fma_f64 v[14:15], v[32:33], v[14:15], -v[76:77]
	v_fma_f64 v[16:17], v[207:208], v[16:17], v[24:25]
	v_fma_f64 v[18:19], v[207:208], v[18:19], -v[26:27]
	v_fma_f64 v[24:25], v[40:41], v[120:121], v[28:29]
	v_fma_f64 v[26:27], v[40:41], v[122:123], -v[30:31]
	buffer_load_dword v40, off, s[52:55], 0 offset:32 ; 4-byte Folded Reload
	v_add_f64 v[0:1], v[4:5], -v[0:1]
	v_add_f64 v[2:3], v[6:7], -v[2:3]
	;; [unrolled: 1-line block ×8, first 2 shown]
	v_fma_f64 v[4:5], v[4:5], 2.0, -v[0:1]
	v_fma_f64 v[6:7], v[6:7], 2.0, -v[2:3]
	;; [unrolled: 1-line block ×5, first 2 shown]
	s_waitcnt vmcnt(0)
	ds_write_b128 v40, v[4:7]
	ds_write_b128 v40, v[0:3] offset:416
	ds_write_b128 v205, v[8:11]
	ds_write_b128 v205, v[12:15] offset:416
	buffer_load_dword v0, off, s[52:55], 0 offset:44 ; 4-byte Folded Reload
	v_mul_f64 v[34:35], v[38:39], v[126:127]
	v_mul_f64 v[38:39], v[38:39], v[124:125]
	v_fma_f64 v[28:29], v[36:37], v[124:125], v[34:35]
	v_fma_f64 v[34:35], v[114:115], 2.0, -v[18:19]
	v_fma_f64 v[30:31], v[36:37], v[126:127], -v[38:39]
	v_fma_f64 v[36:37], v[116:117], 2.0, -v[24:25]
	v_fma_f64 v[38:39], v[118:119], 2.0, -v[26:27]
	s_waitcnt vmcnt(0)
	ds_write_b128 v0, v[32:35]
	ds_write_b128 v0, v[16:19] offset:416
	buffer_load_dword v0, off, s[52:55], 0 offset:40 ; 4-byte Folded Reload
	v_add_f64 v[28:29], v[20:21], -v[28:29]
	v_add_f64 v[30:31], v[22:23], -v[30:31]
	s_waitcnt vmcnt(0)
	ds_write_b128 v0, v[36:39]
	ds_write_b128 v0, v[24:27] offset:416
	buffer_load_dword v0, off, s[52:55], 0 offset:36 ; 4-byte Folded Reload
	v_fma_f64 v[20:21], v[20:21], 2.0, -v[28:29]
	v_fma_f64 v[22:23], v[22:23], 2.0, -v[30:31]
	s_waitcnt vmcnt(0)
	ds_write_b128 v0, v[20:23]
	ds_write_b128 v0, v[28:31] offset:416
	s_waitcnt lgkmcnt(0)
	s_barrier
	ds_read_b128 v[0:3], v172
	ds_read_b128 v[4:7], v172 offset:2496
	ds_read_b128 v[8:11], v172 offset:4992
	;; [unrolled: 1-line block ×5, first 2 shown]
	buffer_load_dword v44, off, s[52:55], 0 offset:96 ; 4-byte Folded Reload
	buffer_load_dword v45, off, s[52:55], 0 offset:100 ; 4-byte Folded Reload
	;; [unrolled: 1-line block ×4, first 2 shown]
	ds_read_b128 v[24:27], v172 offset:14976
	ds_read_b128 v[28:31], v172 offset:17472
	buffer_load_dword v52, off, s[52:55], 0 offset:80 ; 4-byte Folded Reload
	buffer_load_dword v53, off, s[52:55], 0 offset:84 ; 4-byte Folded Reload
	;; [unrolled: 1-line block ×4, first 2 shown]
	ds_read_b128 v[32:35], v172 offset:19968
	ds_read_b128 v[36:39], v172 offset:22464
	buffer_load_dword v48, off, s[52:55], 0 offset:64 ; 4-byte Folded Reload
	buffer_load_dword v49, off, s[52:55], 0 offset:68 ; 4-byte Folded Reload
	;; [unrolled: 1-line block ×4, first 2 shown]
	s_waitcnt vmcnt(8) lgkmcnt(8)
	v_mul_f64 v[40:41], v[46:47], v[6:7]
	v_mul_f64 v[42:43], v[46:47], v[4:5]
	s_waitcnt vmcnt(4) lgkmcnt(7)
	v_mul_f64 v[62:63], v[54:55], v[10:11]
	v_mul_f64 v[54:55], v[54:55], v[8:9]
	v_fma_f64 v[4:5], v[44:45], v[4:5], v[40:41]
	v_fma_f64 v[6:7], v[44:45], v[6:7], -v[42:43]
	buffer_load_dword v44, off, s[52:55], 0 offset:48 ; 4-byte Folded Reload
	buffer_load_dword v45, off, s[52:55], 0 offset:52 ; 4-byte Folded Reload
	;; [unrolled: 1-line block ×4, first 2 shown]
	s_waitcnt vmcnt(4) lgkmcnt(6)
	v_mul_f64 v[40:41], v[50:51], v[14:15]
	v_mul_f64 v[42:43], v[50:51], v[12:13]
	v_fma_f64 v[8:9], v[52:53], v[8:9], v[62:63]
	v_fma_f64 v[10:11], v[52:53], v[10:11], -v[54:55]
	s_waitcnt lgkmcnt(3)
	v_mul_f64 v[54:55], v[66:67], v[26:27]
	v_mul_f64 v[52:53], v[74:75], v[22:23]
	s_waitcnt vmcnt(0) lgkmcnt(0)
	s_barrier
	v_fma_f64 v[12:13], v[48:49], v[12:13], v[40:41]
	v_fma_f64 v[14:15], v[48:49], v[14:15], -v[42:43]
	v_mul_f64 v[40:41], v[74:75], v[20:21]
	v_add_f64 v[42:43], v[0:1], v[8:9]
	v_mul_f64 v[48:49], v[70:71], v[34:35]
	v_fma_f64 v[20:21], v[72:73], v[20:21], v[52:53]
	v_add_f64 v[60:61], v[2:3], v[10:11]
	v_fma_f64 v[22:23], v[72:73], v[22:23], -v[40:41]
	v_mul_f64 v[50:51], v[46:47], v[18:19]
	v_mul_f64 v[46:47], v[46:47], v[16:17]
	v_fma_f64 v[16:17], v[44:45], v[16:17], v[50:51]
	v_fma_f64 v[18:19], v[44:45], v[18:19], -v[46:47]
	v_fma_f64 v[44:45], v[64:65], v[24:25], v[54:55]
	v_mul_f64 v[46:47], v[70:71], v[32:33]
	v_mul_f64 v[24:25], v[66:67], v[24:25]
	;; [unrolled: 1-line block ×3, first 2 shown]
	v_fma_f64 v[32:33], v[68:69], v[32:33], v[48:49]
	v_mul_f64 v[48:49], v[86:87], v[36:37]
	v_add_f64 v[40:41], v[42:43], v[16:17]
	v_mul_f64 v[42:43], v[58:59], v[30:31]
	v_add_f64 v[52:53], v[16:17], v[44:45]
	v_fma_f64 v[34:35], v[68:69], v[34:35], -v[46:47]
	v_mul_f64 v[46:47], v[86:87], v[38:39]
	v_fma_f64 v[24:25], v[64:65], v[26:27], -v[24:25]
	v_fma_f64 v[30:31], v[56:57], v[30:31], -v[50:51]
	;; [unrolled: 1-line block ×3, first 2 shown]
	v_add_f64 v[54:55], v[32:33], -v[44:45]
	v_fma_f64 v[26:27], v[56:57], v[28:29], v[42:43]
	v_fma_f64 v[28:29], v[52:53], -0.5, v[0:1]
	v_add_f64 v[42:43], v[10:11], -v[34:35]
	v_fma_f64 v[36:37], v[84:85], v[36:37], v[46:47]
	v_add_f64 v[46:47], v[8:9], v[32:33]
	v_add_f64 v[50:51], v[18:19], -v[24:25]
	v_add_f64 v[52:53], v[8:9], -v[16:17]
	v_add_f64 v[40:41], v[40:41], v[44:45]
	v_add_f64 v[56:57], v[16:17], -v[8:9]
	v_add_f64 v[58:59], v[44:45], -v[32:33]
	v_fma_f64 v[48:49], v[42:43], s[10:11], v[28:29]
	v_fma_f64 v[28:29], v[42:43], s[8:9], v[28:29]
	v_fma_f64 v[0:1], v[46:47], -0.5, v[0:1]
	v_add_f64 v[8:9], v[8:9], -v[32:33]
	v_add_f64 v[16:17], v[16:17], -v[44:45]
	v_add_f64 v[40:41], v[40:41], v[32:33]
	v_add_f64 v[44:45], v[10:11], -v[18:19]
	v_add_f64 v[62:63], v[22:23], v[30:31]
	v_fma_f64 v[46:47], v[50:51], s[20:21], v[48:49]
	v_add_f64 v[48:49], v[52:53], v[54:55]
	v_add_f64 v[52:53], v[18:19], v[24:25]
	v_fma_f64 v[28:29], v[50:51], s[16:17], v[28:29]
	v_fma_f64 v[54:55], v[50:51], s[8:9], v[0:1]
	;; [unrolled: 1-line block ×3, first 2 shown]
	v_add_f64 v[50:51], v[60:61], v[18:19]
	v_add_f64 v[60:61], v[12:13], v[36:37]
	v_add_f64 v[64:65], v[14:15], -v[22:23]
	v_fma_f64 v[32:33], v[48:49], s[18:19], v[46:47]
	v_fma_f64 v[52:53], v[52:53], -0.5, v[2:3]
	v_fma_f64 v[46:47], v[48:49], s[18:19], v[28:29]
	v_fma_f64 v[28:29], v[42:43], s[20:21], v[54:55]
	v_add_f64 v[48:49], v[56:57], v[58:59]
	v_add_f64 v[56:57], v[34:35], -v[24:25]
	v_add_f64 v[58:59], v[10:11], v[34:35]
	v_fma_f64 v[0:1], v[42:43], s[16:17], v[0:1]
	v_add_f64 v[42:43], v[50:51], v[24:25]
	v_fma_f64 v[54:55], v[8:9], s[8:9], v[52:53]
	v_fma_f64 v[52:53], v[8:9], s[10:11], v[52:53]
	v_add_f64 v[10:11], v[18:19], -v[10:11]
	v_fma_f64 v[50:51], v[48:49], s[18:19], v[28:29]
	v_add_f64 v[28:29], v[20:21], v[26:27]
	v_add_f64 v[44:45], v[44:45], v[56:57]
	v_fma_f64 v[2:3], v[58:59], -0.5, v[2:3]
	v_fma_f64 v[0:1], v[48:49], s[18:19], v[0:1]
	v_fma_f64 v[54:55], v[16:17], s[16:17], v[54:55]
	;; [unrolled: 1-line block ×3, first 2 shown]
	v_add_f64 v[48:49], v[4:5], v[12:13]
	v_add_f64 v[56:57], v[14:15], -v[38:39]
	v_fma_f64 v[28:29], v[28:29], -0.5, v[4:5]
	v_add_f64 v[42:43], v[42:43], v[34:35]
	v_add_f64 v[18:19], v[24:25], -v[34:35]
	v_add_f64 v[34:35], v[22:23], -v[30:31]
	v_fma_f64 v[54:55], v[44:45], s[18:19], v[54:55]
	v_fma_f64 v[44:45], v[44:45], s[18:19], v[52:53]
	v_fma_f64 v[52:53], v[16:17], s[10:11], v[2:3]
	v_fma_f64 v[2:3], v[16:17], s[8:9], v[2:3]
	v_add_f64 v[16:17], v[48:49], v[20:21]
	v_fma_f64 v[24:25], v[56:57], s[10:11], v[28:29]
	v_add_f64 v[48:49], v[12:13], -v[20:21]
	v_add_f64 v[58:59], v[36:37], -v[26:27]
	v_add_f64 v[10:11], v[10:11], v[18:19]
	v_fma_f64 v[4:5], v[60:61], -0.5, v[4:5]
	v_fma_f64 v[52:53], v[8:9], s[16:17], v[52:53]
	v_fma_f64 v[2:3], v[8:9], s[20:21], v[2:3]
	v_add_f64 v[8:9], v[16:17], v[26:27]
	v_fma_f64 v[16:17], v[34:35], s[20:21], v[24:25]
	v_fma_f64 v[24:25], v[56:57], s[8:9], v[28:29]
	v_add_f64 v[18:19], v[48:49], v[58:59]
	v_fma_f64 v[28:29], v[62:63], -0.5, v[6:7]
	v_add_f64 v[48:49], v[12:13], -v[36:37]
	v_add_f64 v[62:63], v[20:21], -v[26:27]
	;; [unrolled: 1-line block ×3, first 2 shown]
	v_add_f64 v[58:59], v[8:9], v[36:37]
	v_add_f64 v[8:9], v[14:15], v[38:39]
	v_fma_f64 v[52:53], v[10:11], s[18:19], v[52:53]
	v_fma_f64 v[2:3], v[10:11], s[18:19], v[2:3]
	;; [unrolled: 1-line block ×5, first 2 shown]
	v_add_f64 v[12:13], v[20:21], -v[12:13]
	v_add_f64 v[20:21], v[26:27], -v[36:37]
	v_fma_f64 v[8:9], v[8:9], -0.5, v[6:7]
	v_add_f64 v[6:7], v[6:7], v[14:15]
	v_fma_f64 v[4:5], v[34:35], s[10:11], v[4:5]
	v_add_f64 v[34:35], v[64:65], v[66:67]
	v_fma_f64 v[26:27], v[62:63], s[16:17], v[60:61]
	v_add_f64 v[14:15], v[22:23], -v[14:15]
	v_add_f64 v[60:61], v[30:31], -v[38:39]
	v_add_f64 v[12:13], v[12:13], v[20:21]
	v_fma_f64 v[36:37], v[62:63], s[10:11], v[8:9]
	v_fma_f64 v[8:9], v[62:63], s[8:9], v[8:9]
	v_add_f64 v[6:7], v[6:7], v[22:23]
	v_fma_f64 v[22:23], v[48:49], s[10:11], v[28:29]
	v_fma_f64 v[20:21], v[34:35], s[18:19], v[26:27]
	v_fma_f64 v[10:11], v[56:57], s[20:21], v[10:11]
	v_add_f64 v[14:15], v[14:15], v[60:61]
	v_fma_f64 v[16:17], v[18:19], s[18:19], v[16:17]
	;; [unrolled: 4-line block ×3, first 2 shown]
	v_fma_f64 v[4:5], v[56:57], s[16:17], v[4:5]
	v_fma_f64 v[18:19], v[18:19], s[18:19], v[24:25]
	v_mul_f64 v[24:25], v[20:21], s[20:21]
	v_mul_f64 v[20:21], v[20:21], s[22:23]
	v_fma_f64 v[26:27], v[14:15], s[18:19], v[26:27]
	v_fma_f64 v[8:9], v[14:15], s[18:19], v[8:9]
	v_add_f64 v[30:31], v[6:7], v[38:39]
	v_fma_f64 v[6:7], v[34:35], s[18:19], v[22:23]
	v_fma_f64 v[10:11], v[12:13], s[18:19], v[10:11]
	;; [unrolled: 1-line block ×5, first 2 shown]
	v_mul_f64 v[14:15], v[26:27], s[10:11]
	v_mul_f64 v[22:23], v[8:9], s[10:11]
	s_mov_b32 s11, 0xbfd3c6ef
	s_mov_b32 s10, s18
	v_mul_f64 v[26:27], v[26:27], s[18:19]
	v_mul_f64 v[24:25], v[6:7], s[20:21]
	s_mov_b32 s21, 0xbfe9e377
	s_mov_b32 s20, s22
	v_mul_f64 v[34:35], v[8:9], s[10:11]
	v_mul_f64 v[6:7], v[6:7], s[20:21]
	v_fma_f64 v[36:37], v[10:11], s[18:19], v[14:15]
	v_fma_f64 v[38:39], v[12:13], s[10:11], v[22:23]
	;; [unrolled: 1-line block ×4, first 2 shown]
	v_add_f64 v[4:5], v[40:41], v[58:59]
	v_add_f64 v[8:9], v[32:33], v[28:29]
	v_fma_f64 v[62:63], v[12:13], s[8:9], v[34:35]
	v_fma_f64 v[64:65], v[18:19], s[16:17], v[6:7]
	v_add_f64 v[6:7], v[42:43], v[30:31]
	v_add_f64 v[10:11], v[54:55], v[56:57]
	;; [unrolled: 1-line block ×8, first 2 shown]
	v_add_f64 v[24:25], v[40:41], -v[58:59]
	v_add_f64 v[26:27], v[42:43], -v[30:31]
	;; [unrolled: 1-line block ×10, first 2 shown]
	ds_write_b128 v223, v[4:7]
	ds_write_b128 v223, v[8:11] offset:832
	ds_write_b128 v223, v[12:15] offset:1664
	;; [unrolled: 1-line block ×9, first 2 shown]
	s_waitcnt lgkmcnt(0)
	s_barrier
	ds_read_b128 v[12:15], v172
	ds_read_b128 v[8:11], v172 offset:2496
	ds_read_b128 v[32:35], v172 offset:16640
	;; [unrolled: 1-line block ×8, first 2 shown]
	s_and_saveexec_b64 s[8:9], s[2:3]
	s_cbranch_execz .LBB0_19
; %bb.18:
	ds_read_b128 v[0:3], v172 offset:7488
	ds_read_b128 v[164:167], v172 offset:15808
	;; [unrolled: 1-line block ×3, first 2 shown]
.LBB0_19:
	s_or_b64 exec, exec, s[8:9]
	s_waitcnt lgkmcnt(4)
	v_mul_f64 v[40:41], v[90:91], v[38:39]
	v_mul_f64 v[42:43], v[94:95], v[34:35]
	;; [unrolled: 1-line block ×4, first 2 shown]
	s_waitcnt lgkmcnt(2)
	v_mul_f64 v[48:49], v[98:99], v[30:31]
	v_mul_f64 v[52:53], v[102:103], v[22:23]
	v_mul_f64 v[50:51], v[98:99], v[28:29]
	s_waitcnt lgkmcnt(0)
	v_mul_f64 v[58:59], v[106:107], v[16:17]
	v_fma_f64 v[36:37], v[88:89], v[36:37], v[40:41]
	v_fma_f64 v[32:33], v[92:93], v[32:33], v[42:43]
	v_fma_f64 v[38:39], v[88:89], v[38:39], -v[44:45]
	v_fma_f64 v[34:35], v[92:93], v[34:35], -v[46:47]
	v_mul_f64 v[40:41], v[102:103], v[20:21]
	v_mul_f64 v[42:43], v[110:111], v[26:27]
	v_fma_f64 v[46:47], v[96:97], v[28:29], v[48:49]
	v_fma_f64 v[48:49], v[100:101], v[20:21], v[52:53]
	v_mul_f64 v[54:55], v[110:111], v[24:25]
	v_mul_f64 v[56:57], v[106:107], v[18:19]
	v_add_f64 v[44:45], v[36:37], v[32:33]
	v_add_f64 v[20:21], v[12:13], v[36:37]
	;; [unrolled: 1-line block ×3, first 2 shown]
	v_fma_f64 v[30:31], v[96:97], v[30:31], -v[50:51]
	v_fma_f64 v[40:41], v[100:101], v[22:23], -v[40:41]
	v_fma_f64 v[42:43], v[108:109], v[24:25], v[42:43]
	v_add_f64 v[24:25], v[38:39], -v[34:35]
	v_add_f64 v[38:39], v[14:15], v[38:39]
	v_fma_f64 v[50:51], v[104:105], v[18:19], -v[58:59]
	v_add_f64 v[18:19], v[46:47], v[48:49]
	v_fma_f64 v[26:27], v[108:109], v[26:27], -v[54:55]
	v_fma_f64 v[22:23], v[44:45], -0.5, v[12:13]
	v_fma_f64 v[44:45], v[104:105], v[16:17], v[56:57]
	v_add_f64 v[12:13], v[20:21], v[32:33]
	v_fma_f64 v[28:29], v[28:29], -0.5, v[14:15]
	v_add_f64 v[32:33], v[36:37], -v[32:33]
	v_add_f64 v[36:37], v[8:9], v[46:47]
	v_add_f64 v[14:15], v[38:39], v[34:35]
	;; [unrolled: 1-line block ×3, first 2 shown]
	s_mov_b32 s8, 0xe8584caa
	s_mov_b32 s9, 0xbfebb67a
	;; [unrolled: 1-line block ×4, first 2 shown]
	v_fma_f64 v[52:53], v[18:19], -0.5, v[8:9]
	v_add_f64 v[54:55], v[30:31], -v[40:41]
	v_fma_f64 v[16:17], v[24:25], s[8:9], v[22:23]
	v_fma_f64 v[20:21], v[24:25], s[10:11], v[22:23]
	;; [unrolled: 1-line block ×4, first 2 shown]
	v_add_f64 v[8:9], v[36:37], v[48:49]
	v_add_f64 v[32:33], v[42:43], v[44:45]
	;; [unrolled: 1-line block ×4, first 2 shown]
	v_fma_f64 v[34:35], v[34:35], -0.5, v[10:11]
	v_add_f64 v[38:39], v[46:47], -v[48:49]
	v_fma_f64 v[24:25], v[54:55], s[8:9], v[52:53]
	v_fma_f64 v[28:29], v[54:55], s[10:11], v[52:53]
	v_add_f64 v[46:47], v[4:5], v[42:43]
	v_add_f64 v[54:55], v[6:7], v[26:27]
	v_fma_f64 v[48:49], v[32:33], -0.5, v[4:5]
	v_add_f64 v[52:53], v[26:27], -v[50:51]
	v_fma_f64 v[56:57], v[36:37], -0.5, v[6:7]
	v_add_f64 v[42:43], v[42:43], -v[44:45]
	v_add_f64 v[10:11], v[30:31], v[40:41]
	v_fma_f64 v[26:27], v[38:39], s[10:11], v[34:35]
	v_fma_f64 v[30:31], v[38:39], s[8:9], v[34:35]
	v_add_f64 v[4:5], v[46:47], v[44:45]
	v_add_f64 v[6:7], v[54:55], v[50:51]
	v_fma_f64 v[32:33], v[52:53], s[8:9], v[48:49]
	v_fma_f64 v[36:37], v[52:53], s[10:11], v[48:49]
	;; [unrolled: 1-line block ×4, first 2 shown]
	ds_write_b128 v172, v[12:15]
	ds_write_b128 v172, v[16:19] offset:8320
	ds_write_b128 v172, v[20:23] offset:16640
	;; [unrolled: 1-line block ×8, first 2 shown]
	s_and_saveexec_b64 s[16:17], s[2:3]
	s_cbranch_execz .LBB0_21
; %bb.20:
	buffer_load_dword v12, off, s[52:55], 0 offset:112 ; 4-byte Folded Reload
	buffer_load_dword v13, off, s[52:55], 0 offset:116 ; 4-byte Folded Reload
	;; [unrolled: 1-line block ×4, first 2 shown]
	v_mul_f64 v[6:7], v[82:83], v[160:161]
	v_mul_f64 v[10:11], v[82:83], v[162:163]
	v_fma_f64 v[6:7], v[80:81], v[162:163], -v[6:7]
	v_fma_f64 v[10:11], v[80:81], v[160:161], v[10:11]
	s_waitcnt vmcnt(0)
	v_mul_f64 v[4:5], v[14:15], v[164:165]
	v_mul_f64 v[8:9], v[14:15], v[166:167]
	v_fma_f64 v[4:5], v[12:13], v[166:167], -v[4:5]
	v_fma_f64 v[8:9], v[12:13], v[164:165], v[8:9]
	v_add_f64 v[12:13], v[4:5], v[6:7]
	v_add_f64 v[14:15], v[8:9], v[10:11]
	v_add_f64 v[16:17], v[8:9], -v[10:11]
	v_add_f64 v[18:19], v[2:3], v[4:5]
	v_add_f64 v[8:9], v[0:1], v[8:9]
	v_add_f64 v[4:5], v[4:5], -v[6:7]
	v_fma_f64 v[12:13], v[12:13], -0.5, v[2:3]
	v_fma_f64 v[14:15], v[14:15], -0.5, v[0:1]
	v_add_f64 v[2:3], v[18:19], v[6:7]
	v_add_f64 v[0:1], v[8:9], v[10:11]
	v_fma_f64 v[10:11], v[16:17], s[10:11], v[12:13]
	v_fma_f64 v[8:9], v[4:5], s[8:9], v[14:15]
	;; [unrolled: 1-line block ×4, first 2 shown]
	ds_write_b128 v172, v[0:3] offset:7488
	ds_write_b128 v172, v[8:11] offset:15808
	;; [unrolled: 1-line block ×3, first 2 shown]
.LBB0_21:
	s_or_b64 exec, exec, s[16:17]
	s_waitcnt lgkmcnt(0)
	s_barrier
	s_and_b64 exec, exec, s[0:1]
	s_cbranch_execz .LBB0_23
; %bb.22:
	v_mov_b32_e32 v12, s15
	v_add_co_u32_e32 v68, vcc, s14, v255
	s_movk_i32 s0, 0x1000
	v_addc_co_u32_e32 v69, vcc, 0, v12, vcc
	v_add_co_u32_e32 v20, vcc, s0, v68
	v_addc_co_u32_e32 v21, vcc, 0, v69, vcc
	global_load_dwordx4 v[0:3], v255, s[14:15]
	global_load_dwordx4 v[4:7], v255, s[14:15] offset:1920
	global_load_dwordx4 v[8:11], v255, s[14:15] offset:3840
	global_load_dwordx4 v[12:15], v[20:21], off offset:1664
	buffer_load_dword v16, off, s[52:55], 0 ; 4-byte Folded Reload
	buffer_load_dword v17, off, s[52:55], 0 offset:4 ; 4-byte Folded Reload
	v_mad_u64_u32 v[58:59], s[2:3], s4, v206, 0
	global_load_dwordx4 v[20:23], v[20:21], off offset:3584
	s_mul_i32 s2, s4, 0x780
	s_mul_i32 s3, s5, 0x780
	v_mov_b32_e32 v49, v59
	s_movk_i32 s8, 0x3000
	s_movk_i32 s9, 0x4000
	v_mov_b32_e32 v67, s13
	s_waitcnt vmcnt(2)
	v_mov_b32_e32 v50, v16
	v_mad_u64_u32 v[56:57], s[0:1], s6, v50, 0
	s_mul_hi_u32 s6, s4, 0x780
	s_movk_i32 s4, 0x2000
	v_add_co_u32_e32 v44, vcc, s4, v68
	v_addc_co_u32_e32 v45, vcc, 0, v69, vcc
	s_waitcnt vmcnt(1)
	ds_read_b128 v[16:19], v172
	ds_read_b128 v[24:27], v255 offset:1920
	ds_read_b128 v[28:31], v255 offset:3840
	;; [unrolled: 1-line block ×4, first 2 shown]
	global_load_dwordx4 v[40:43], v[44:45], off offset:1408
	v_mov_b32_e32 v48, v57
	global_load_dwordx4 v[44:47], v[44:45], off offset:3328
	s_add_i32 s3, s6, s3
	v_mad_u64_u32 v[64:65], s[6:7], s7, v50, v[48:49]
	v_add_co_u32_e32 v60, vcc, s8, v68
	v_addc_co_u32_e32 v61, vcc, 0, v69, vcc
	v_mad_u64_u32 v[65:66], s[4:5], s5, v206, v[49:50]
	global_load_dwordx4 v[48:51], v[60:61], off offset:1152
	global_load_dwordx4 v[52:55], v[60:61], off offset:3072
	v_mov_b32_e32 v57, v64
	v_add_co_u32_e32 v62, vcc, s9, v68
	v_lshlrev_b64 v[56:57], 4, v[56:57]
	v_addc_co_u32_e32 v63, vcc, 0, v69, vcc
	v_mov_b32_e32 v59, v65
	v_lshlrev_b64 v[58:59], 4, v[58:59]
	v_add_co_u32_e32 v56, vcc, s12, v56
	v_addc_co_u32_e32 v57, vcc, v67, v57, vcc
	v_add_co_u32_e32 v56, vcc, v56, v58
	v_addc_co_u32_e32 v57, vcc, v57, v59, vcc
	s_waitcnt lgkmcnt(4)
	v_mul_f64 v[58:59], v[18:19], v[2:3]
	v_mul_f64 v[2:3], v[16:17], v[2:3]
	s_waitcnt lgkmcnt(3)
	v_mul_f64 v[60:61], v[26:27], v[6:7]
	v_mul_f64 v[6:7], v[24:25], v[6:7]
	;; [unrolled: 3-line block ×3, first 2 shown]
	s_mov_b32 s0, 0x15015015
	s_mov_b32 s1, 0x3f450150
	v_fma_f64 v[16:17], v[16:17], v[0:1], v[58:59]
	v_fma_f64 v[2:3], v[0:1], v[18:19], -v[2:3]
	v_fma_f64 v[18:19], v[24:25], v[4:5], v[60:61]
	v_fma_f64 v[6:7], v[4:5], v[26:27], -v[6:7]
	;; [unrolled: 2-line block ×3, first 2 shown]
	s_waitcnt lgkmcnt(1)
	v_mul_f64 v[26:27], v[34:35], v[14:15]
	v_mul_f64 v[28:29], v[32:33], v[14:15]
	;; [unrolled: 1-line block ×3, first 2 shown]
	global_load_dwordx4 v[14:17], v[62:63], off offset:896
	v_mul_f64 v[2:3], v[2:3], s[0:1]
	v_mul_f64 v[4:5], v[18:19], s[0:1]
	;; [unrolled: 1-line block ×5, first 2 shown]
	v_mov_b32_e32 v70, s3
	v_add_co_u32_e32 v66, vcc, s2, v56
	v_addc_co_u32_e32 v67, vcc, v57, v70, vcc
	v_mov_b32_e32 v71, s3
	v_add_co_u32_e32 v30, vcc, s2, v66
	v_addc_co_u32_e32 v31, vcc, v67, v71, vcc
	global_store_dwordx4 v[56:57], v[0:3], off
	global_store_dwordx4 v[66:67], v[4:7], off
	;; [unrolled: 1-line block ×3, first 2 shown]
	s_movk_i32 s4, 0x5000
	v_fma_f64 v[24:25], v[32:33], v[12:13], v[26:27]
	v_fma_f64 v[12:13], v[12:13], v[34:35], -v[28:29]
	global_load_dwordx4 v[0:3], v[62:63], off offset:2816
	v_add_co_u32_e32 v28, vcc, s4, v68
	v_addc_co_u32_e32 v29, vcc, 0, v69, vcc
	global_load_dwordx4 v[4:7], v[28:29], off offset:640
	s_waitcnt vmcnt(10) lgkmcnt(0)
	v_mul_f64 v[18:19], v[38:39], v[22:23]
	v_mul_f64 v[26:27], v[36:37], v[22:23]
	;; [unrolled: 1-line block ×3, first 2 shown]
	ds_read_b128 v[22:25], v255 offset:9600
	v_mul_f64 v[10:11], v[12:13], s[0:1]
	v_mov_b32_e32 v56, s3
	v_add_co_u32_e32 v30, vcc, s2, v30
	v_fma_f64 v[12:13], v[36:37], v[20:21], v[18:19]
	v_fma_f64 v[26:27], v[20:21], v[38:39], -v[26:27]
	ds_read_b128 v[18:21], v255 offset:11520
	s_waitcnt vmcnt(9) lgkmcnt(1)
	v_mul_f64 v[32:33], v[24:25], v[42:43]
	v_mul_f64 v[34:35], v[22:23], v[42:43]
	v_addc_co_u32_e32 v31, vcc, v31, v56, vcc
	global_store_dwordx4 v[30:31], v[8:11], off
	v_mov_b32_e32 v36, s3
	v_mul_f64 v[8:9], v[12:13], s[0:1]
	v_mul_f64 v[10:11], v[26:27], s[0:1]
	v_fma_f64 v[12:13], v[22:23], v[40:41], v[32:33]
	v_fma_f64 v[22:23], v[40:41], v[24:25], -v[34:35]
	s_waitcnt vmcnt(9) lgkmcnt(0)
	v_mul_f64 v[26:27], v[20:21], v[46:47]
	v_mul_f64 v[32:33], v[18:19], v[46:47]
	v_add_co_u32_e32 v30, vcc, s2, v30
	v_addc_co_u32_e32 v31, vcc, v31, v36, vcc
	global_store_dwordx4 v[30:31], v[8:11], off
	v_add_co_u32_e32 v30, vcc, s2, v30
	v_mul_f64 v[10:11], v[22:23], s[0:1]
	ds_read_b128 v[22:25], v255 offset:13440
	v_mul_f64 v[8:9], v[12:13], s[0:1]
	v_fma_f64 v[12:13], v[18:19], v[44:45], v[26:27]
	v_fma_f64 v[26:27], v[44:45], v[20:21], -v[32:33]
	ds_read_b128 v[18:21], v255 offset:15360
	s_waitcnt vmcnt(9) lgkmcnt(1)
	v_mul_f64 v[32:33], v[24:25], v[50:51]
	v_mul_f64 v[34:35], v[22:23], v[50:51]
	v_addc_co_u32_e32 v31, vcc, v31, v36, vcc
	global_store_dwordx4 v[30:31], v[8:11], off
	v_add_co_u32_e32 v30, vcc, s2, v30
	v_mul_f64 v[8:9], v[12:13], s[0:1]
	v_mul_f64 v[10:11], v[26:27], s[0:1]
	v_fma_f64 v[12:13], v[22:23], v[48:49], v[32:33]
	v_fma_f64 v[22:23], v[48:49], v[24:25], -v[34:35]
	s_waitcnt vmcnt(9) lgkmcnt(0)
	v_mul_f64 v[24:25], v[20:21], v[54:55]
	v_mul_f64 v[26:27], v[18:19], v[54:55]
	v_addc_co_u32_e32 v31, vcc, v31, v36, vcc
	global_store_dwordx4 v[30:31], v[8:11], off
	s_nop 0
	v_mul_f64 v[8:9], v[12:13], s[0:1]
	v_mul_f64 v[10:11], v[22:23], s[0:1]
	v_fma_f64 v[12:13], v[18:19], v[52:53], v[24:25]
	v_fma_f64 v[26:27], v[52:53], v[20:21], -v[26:27]
	ds_read_b128 v[18:21], v255 offset:17280
	v_mov_b32_e32 v22, s3
	v_add_co_u32_e32 v30, vcc, s2, v30
	v_addc_co_u32_e32 v31, vcc, v31, v22, vcc
	ds_read_b128 v[22:25], v255 offset:19200
	global_store_dwordx4 v[30:31], v[8:11], off
	v_add_co_u32_e32 v30, vcc, s2, v30
	v_mul_f64 v[8:9], v[12:13], s[0:1]
	s_waitcnt vmcnt(10) lgkmcnt(1)
	v_mul_f64 v[12:13], v[20:21], v[16:17]
	v_mul_f64 v[10:11], v[26:27], s[0:1]
	;; [unrolled: 1-line block ×3, first 2 shown]
	v_mov_b32_e32 v16, s3
	v_addc_co_u32_e32 v31, vcc, v31, v16, vcc
	v_fma_f64 v[32:33], v[18:19], v[14:15], v[12:13]
	ds_read_b128 v[16:19], v255 offset:21120
	v_fma_f64 v[20:21], v[14:15], v[20:21], -v[26:27]
	ds_read_b128 v[12:15], v255 offset:23040
	s_waitcnt vmcnt(6) lgkmcnt(2)
	v_mul_f64 v[26:27], v[24:25], v[2:3]
	v_mul_f64 v[2:3], v[22:23], v[2:3]
	s_waitcnt vmcnt(5) lgkmcnt(1)
	v_mul_f64 v[34:35], v[18:19], v[6:7]
	v_mul_f64 v[36:37], v[16:17], v[6:7]
	global_store_dwordx4 v[30:31], v[8:11], off
	v_mul_f64 v[6:7], v[32:33], s[0:1]
	v_mul_f64 v[8:9], v[20:21], s[0:1]
	v_mov_b32_e32 v21, s3
	v_fma_f64 v[10:11], v[22:23], v[0:1], v[26:27]
	v_fma_f64 v[2:3], v[0:1], v[24:25], -v[2:3]
	v_fma_f64 v[16:17], v[16:17], v[4:5], v[34:35]
	v_fma_f64 v[18:19], v[4:5], v[18:19], -v[36:37]
	v_add_co_u32_e32 v20, vcc, s2, v30
	v_addc_co_u32_e32 v21, vcc, v31, v21, vcc
	v_mul_f64 v[0:1], v[10:11], s[0:1]
	v_mul_f64 v[2:3], v[2:3], s[0:1]
	global_store_dwordx4 v[20:21], v[6:9], off
	v_mul_f64 v[4:5], v[16:17], s[0:1]
	v_mul_f64 v[6:7], v[18:19], s[0:1]
	v_mov_b32_e32 v9, s3
	v_add_co_u32_e32 v8, vcc, s2, v20
	v_addc_co_u32_e32 v9, vcc, v21, v9, vcc
	global_store_dwordx4 v[8:9], v[0:3], off
	v_add_co_u32_e32 v8, vcc, s2, v8
	v_mov_b32_e32 v0, s3
	v_addc_co_u32_e32 v9, vcc, v9, v0, vcc
	global_store_dwordx4 v[8:9], v[4:7], off
	global_load_dwordx4 v[0:3], v[28:29], off offset:2560
	s_waitcnt vmcnt(0) lgkmcnt(0)
	v_mul_f64 v[4:5], v[14:15], v[2:3]
	v_mul_f64 v[2:3], v[12:13], v[2:3]
	v_fma_f64 v[4:5], v[12:13], v[0:1], v[4:5]
	v_fma_f64 v[2:3], v[0:1], v[14:15], -v[2:3]
	v_mul_f64 v[0:1], v[4:5], s[0:1]
	v_mul_f64 v[2:3], v[2:3], s[0:1]
	v_mov_b32_e32 v5, s3
	v_add_co_u32_e32 v4, vcc, s2, v8
	v_addc_co_u32_e32 v5, vcc, v9, v5, vcc
	global_store_dwordx4 v[4:5], v[0:3], off
.LBB0_23:
	s_endpgm
	.section	.rodata,"a",@progbits
	.p2align	6, 0x0
	.amdhsa_kernel bluestein_single_fwd_len1560_dim1_dp_op_CI_CI
		.amdhsa_group_segment_fixed_size 24960
		.amdhsa_private_segment_fixed_size 484
		.amdhsa_kernarg_size 104
		.amdhsa_user_sgpr_count 6
		.amdhsa_user_sgpr_private_segment_buffer 1
		.amdhsa_user_sgpr_dispatch_ptr 0
		.amdhsa_user_sgpr_queue_ptr 0
		.amdhsa_user_sgpr_kernarg_segment_ptr 1
		.amdhsa_user_sgpr_dispatch_id 0
		.amdhsa_user_sgpr_flat_scratch_init 0
		.amdhsa_user_sgpr_private_segment_size 0
		.amdhsa_uses_dynamic_stack 0
		.amdhsa_system_sgpr_private_segment_wavefront_offset 1
		.amdhsa_system_sgpr_workgroup_id_x 1
		.amdhsa_system_sgpr_workgroup_id_y 0
		.amdhsa_system_sgpr_workgroup_id_z 0
		.amdhsa_system_sgpr_workgroup_info 0
		.amdhsa_system_vgpr_workitem_id 0
		.amdhsa_next_free_vgpr 256
		.amdhsa_next_free_sgpr 56
		.amdhsa_reserve_vcc 1
		.amdhsa_reserve_flat_scratch 0
		.amdhsa_float_round_mode_32 0
		.amdhsa_float_round_mode_16_64 0
		.amdhsa_float_denorm_mode_32 3
		.amdhsa_float_denorm_mode_16_64 3
		.amdhsa_dx10_clamp 1
		.amdhsa_ieee_mode 1
		.amdhsa_fp16_overflow 0
		.amdhsa_exception_fp_ieee_invalid_op 0
		.amdhsa_exception_fp_denorm_src 0
		.amdhsa_exception_fp_ieee_div_zero 0
		.amdhsa_exception_fp_ieee_overflow 0
		.amdhsa_exception_fp_ieee_underflow 0
		.amdhsa_exception_fp_ieee_inexact 0
		.amdhsa_exception_int_div_zero 0
	.end_amdhsa_kernel
	.text
.Lfunc_end0:
	.size	bluestein_single_fwd_len1560_dim1_dp_op_CI_CI, .Lfunc_end0-bluestein_single_fwd_len1560_dim1_dp_op_CI_CI
                                        ; -- End function
	.section	.AMDGPU.csdata,"",@progbits
; Kernel info:
; codeLenInByte = 22440
; NumSgprs: 60
; NumVgprs: 256
; ScratchSize: 484
; MemoryBound: 0
; FloatMode: 240
; IeeeMode: 1
; LDSByteSize: 24960 bytes/workgroup (compile time only)
; SGPRBlocks: 7
; VGPRBlocks: 63
; NumSGPRsForWavesPerEU: 60
; NumVGPRsForWavesPerEU: 256
; Occupancy: 1
; WaveLimiterHint : 1
; COMPUTE_PGM_RSRC2:SCRATCH_EN: 1
; COMPUTE_PGM_RSRC2:USER_SGPR: 6
; COMPUTE_PGM_RSRC2:TRAP_HANDLER: 0
; COMPUTE_PGM_RSRC2:TGID_X_EN: 1
; COMPUTE_PGM_RSRC2:TGID_Y_EN: 0
; COMPUTE_PGM_RSRC2:TGID_Z_EN: 0
; COMPUTE_PGM_RSRC2:TIDIG_COMP_CNT: 0
	.type	__hip_cuid_8eb11419b06506ec,@object ; @__hip_cuid_8eb11419b06506ec
	.section	.bss,"aw",@nobits
	.globl	__hip_cuid_8eb11419b06506ec
__hip_cuid_8eb11419b06506ec:
	.byte	0                               ; 0x0
	.size	__hip_cuid_8eb11419b06506ec, 1

	.ident	"AMD clang version 19.0.0git (https://github.com/RadeonOpenCompute/llvm-project roc-6.4.0 25133 c7fe45cf4b819c5991fe208aaa96edf142730f1d)"
	.section	".note.GNU-stack","",@progbits
	.addrsig
	.addrsig_sym __hip_cuid_8eb11419b06506ec
	.amdgpu_metadata
---
amdhsa.kernels:
  - .args:
      - .actual_access:  read_only
        .address_space:  global
        .offset:         0
        .size:           8
        .value_kind:     global_buffer
      - .actual_access:  read_only
        .address_space:  global
        .offset:         8
        .size:           8
        .value_kind:     global_buffer
      - .actual_access:  read_only
        .address_space:  global
        .offset:         16
        .size:           8
        .value_kind:     global_buffer
      - .actual_access:  read_only
        .address_space:  global
        .offset:         24
        .size:           8
        .value_kind:     global_buffer
      - .actual_access:  read_only
        .address_space:  global
        .offset:         32
        .size:           8
        .value_kind:     global_buffer
      - .offset:         40
        .size:           8
        .value_kind:     by_value
      - .address_space:  global
        .offset:         48
        .size:           8
        .value_kind:     global_buffer
      - .address_space:  global
        .offset:         56
        .size:           8
        .value_kind:     global_buffer
      - .address_space:  global
        .offset:         64
        .size:           8
        .value_kind:     global_buffer
      - .address_space:  global
        .offset:         72
        .size:           8
        .value_kind:     global_buffer
      - .offset:         80
        .size:           4
        .value_kind:     by_value
      - .address_space:  global
        .offset:         88
        .size:           8
        .value_kind:     global_buffer
      - .address_space:  global
        .offset:         96
        .size:           8
        .value_kind:     global_buffer
    .group_segment_fixed_size: 24960
    .kernarg_segment_align: 8
    .kernarg_segment_size: 104
    .language:       OpenCL C
    .language_version:
      - 2
      - 0
    .max_flat_workgroup_size: 156
    .name:           bluestein_single_fwd_len1560_dim1_dp_op_CI_CI
    .private_segment_fixed_size: 484
    .sgpr_count:     60
    .sgpr_spill_count: 0
    .symbol:         bluestein_single_fwd_len1560_dim1_dp_op_CI_CI.kd
    .uniform_work_group_size: 1
    .uses_dynamic_stack: false
    .vgpr_count:     256
    .vgpr_spill_count: 120
    .wavefront_size: 64
amdhsa.target:   amdgcn-amd-amdhsa--gfx906
amdhsa.version:
  - 1
  - 2
...

	.end_amdgpu_metadata
